;; amdgpu-corpus repo=ROCm/aiter kind=harvested arch=n/a opt=n/a

/root/src/amdgpu-assembly/repos/ROCm__aiter/hsa/gfx950/fmoe_2stages/fmoe_stage1_bf16_pertokenFp8_g1u1_112x64_2tg_pf2.co:	file format elf64-amdgpu

Disassembly of section .text:

0000000000002a00 <_ZN5aiter48fmoe_stage1_bf16_pertokenFp8_g1u1_112x64_2tg_pf2E>:
	s_and_b32 s1, s1, 0xffff                                   // 000000002A00: 8601FF01 0000FFFF
	s_load_dwordx2 s[8:9], s[0:1], 0x0                         // 000000002A08: C0060200 00000000
	s_load_dwordx2 s[20:21], s[0:1], 0x10                      // 000000002A10: C0060500 00000010
	s_load_dwordx2 s[24:25], s[0:1], 0x20                      // 000000002A18: C0060600 00000020
	s_load_dwordx2 s[48:49], s[0:1], 0x30                      // 000000002A20: C0060C00 00000030
	s_load_dwordx2 s[28:29], s[0:1], 0x40                      // 000000002A28: C0060700 00000040
	s_load_dwordx2 s[32:33], s[0:1], 0x50                      // 000000002A30: C0060800 00000050
	s_load_dwordx2 s[36:37], s[0:1], 0x60                      // 000000002A38: C0060900 00000060
	s_load_dwordx2 s[12:13], s[0:1], 0x70                      // 000000002A40: C0060300 00000070
	s_load_dwordx2 s[44:45], s[0:1], 0x80                      // 000000002A48: C0060B00 00000080
	s_mov_b32 s89, 0                                           // 000000002A50: BED90080
	s_load_dword s64, s[0:1], 0x90                             // 000000002A54: C0021000 00000090
	s_load_dword s65, s[0:1], 0xa0                             // 000000002A5C: C0021040 000000A0
	s_load_dword s66, s[0:1], 0xb0                             // 000000002A64: C0021080 000000B0
	s_load_dword s67, s[0:1], 0xc0                             // 000000002A6C: C00210C0 000000C0
	s_load_dword s68, s[0:1], 0xd0                             // 000000002A74: C0021100 000000D0
	s_load_dword s69, s[0:1], 0xe0                             // 000000002A7C: C0021140 000000E0
	s_load_dword s71, s[0:1], 0xf0                             // 000000002A84: C00211C0 000000F0
	s_load_dword s72, s[0:1], 0x100                            // 000000002A8C: C0021200 00000100
	s_load_dword s74, s[0:1], 0x110                            // 000000002A94: C0021280 00000110
	s_load_dword s76, s[0:1], 0x120                            // 000000002A9C: C0021300 00000120
	s_load_dword s56, s[0:1], 0x130                            // 000000002AA4: C0020E00 00000130
	s_load_dword s88, s[0:1], 0x140                            // 000000002AAC: C0021600 00000140
	s_load_dword s89, s[0:1], 0x150                            // 000000002AB4: C0021640 00000150
	v_lshrrev_b32_e32 v1, 10, v0                               // 000000002ABC: 2002008A
	v_lshrrev_b32_e32 v2, 10, v1                               // 000000002AC0: 2004028A
	v_and_b32_e32 v2, 0x3ff, v2                                // 000000002AC4: 260404FF 000003FF
	v_and_b32_e32 v1, 0x3ff, v1                                // 000000002ACC: 260202FF 000003FF
	v_and_b32_e32 v0, 0x3ff, v0                                // 000000002AD4: 260000FF 000003FF
	v_lshrrev_b32_e32 v3, 6, v0                                // 000000002ADC: 20060086
	v_and_b32_e32 v0, 63, v0                                   // 000000002AE0: 260000BF
	s_mov_b32 s2, s2                                           // 000000002AE4: BE820002
	s_mov_b32 s3, s3                                           // 000000002AE8: BE830003
	s_mov_b32 s4, s4                                           // 000000002AEC: BE840004
	v_readfirstlane_b32 s7, v3                                 // 000000002AF0: 7E0E0503
	s_waitcnt lgkmcnt(0)                                       // 000000002AF4: BF8CC07F
	s_and_b32 s49, s49, 0xffff                                 // 000000002AF8: 8631FF31 0000FFFF
	s_load_dword s48, s[48:49], 0x0                            // 000000002B00: C0020C18 00000000
	s_and_b32 s45, s45, 0xffff                                 // 000000002B08: 862DFF2D 0000FFFF
	s_and_b32 s9, s9, 0xffff                                   // 000000002B10: 8609FF09 0000FFFF
	s_mul_i32 s60, s66, s68                                    // 000000002B18: 923C4442
	s_mul_i32 s61, s66, 4                                      // 000000002B1C: 923D8442
	s_mov_b32 s22, s60                                         // 000000002B20: BE96003C
	s_mov_b32 s26, -16                                         // 000000002B24: BE9A00D0
	s_mov_b32 s30, s61                                         // 000000002B28: BE9E003D
	s_mov_b32 s14, 0x1c0                                       // 000000002B2C: BE8E00FF 000001C0
	s_mov_b32 s38, -16                                         // 000000002B34: BEA600D0
	s_mov_b32 s10, -16                                         // 000000002B38: BE8A00D0
	s_mov_b32 s34, 0x100                                       // 000000002B3C: BEA200FF 00000100
	s_mov_b32 s23, 0x20000                                     // 000000002B44: BE9700FF 00020000
	s_mov_b32 s27, 0x20000                                     // 000000002B4C: BE9B00FF 00020000
	s_mov_b32 s31, 0x20000                                     // 000000002B54: BE9F00FF 00020000
	s_mov_b32 s35, 0x20000                                     // 000000002B5C: BEA300FF 00020000
	s_mov_b32 s15, 0x20000                                     // 000000002B64: BE8F00FF 00020000
	s_mov_b32 s39, 0x20000                                     // 000000002B6C: BEA700FF 00020000
	s_mov_b32 s11, 0x20000                                     // 000000002B74: BE8B00FF 00020000
	s_and_b32 s21, s21, 0xffff                                 // 000000002B7C: 8615FF15 0000FFFF
	s_and_b32 s25, s25, 0xffff                                 // 000000002B84: 8619FF19 0000FFFF
	s_and_b32 s29, s29, 0xffff                                 // 000000002B8C: 861DFF1D 0000FFFF
	s_and_b32 s33, s33, 0xffff                                 // 000000002B94: 8621FF21 0000FFFF
	s_and_b32 s13, s13, 0xffff                                 // 000000002B9C: 860DFF0D 0000FFFF
	s_and_b32 s37, s37, 0xffff                                 // 000000002BA4: 8625FF25 0000FFFF
	s_or_b32 s21, s21, 0x40000                                 // 000000002BAC: 8715FF15 00040000
	s_or_b32 s25, s25, 0x40000                                 // 000000002BB4: 8719FF19 00040000
	s_or_b32 s29, s29, 0x40000                                 // 000000002BBC: 871DFF1D 00040000
	s_or_b32 s33, s33, 0x40000                                 // 000000002BC4: 8721FF21 00040000
	s_or_b32 s13, s13, 0x40000                                 // 000000002BCC: 870DFF0D 00040000
	s_or_b32 s37, s37, 0x40000                                 // 000000002BD4: 8725FF25 00040000
	v_accvgpr_write_b32 a127, 0                                // 000000002BDC: D3D9407F 18000080
	v_mov_b32_e32 v127, 0                                      // 000000002BE4: 7EFE0280
	s_waitcnt lgkmcnt(0)                                       // 000000002BE8: BF8CC07F
	s_mul_i32 s60, s3, 0x70                                    // 000000002BEC: 923CFF03 00000070
	s_cmp_lt_i32 s60, s48                                      // 000000002BF4: BF04303C
	s_cbranch_scc0 label_1E5F                                  // 000000002BF8: BF841DDD
	s_mov_b32 s80, 0                                           // 000000002BFC: BED00080
	s_lshr_b32 s81, s64, s88                                   // 000000002C00: 8F515840
	s_mul_i32 s60, s3, 4                                       // 000000002C04: 923C8403
	s_add_u32 s44, s60, s44                                    // 000000002C08: 802C2C3C
	s_addc_u32 s45, 0, s45                                     // 000000002C0C: 822D2D80
	s_load_dword s5, s[44:45], 0x0                             // 000000002C10: C0020156 00000000
	s_mul_i32 s60, s3, 0x70                                    // 000000002C18: 923CFF03 00000070
	s_mul_i32 s60, 4, s60                                      // 000000002C20: 923C3C84
	s_add_u32 s12, s60, s12                                    // 000000002C24: 800C0C3C
	s_addc_u32 s13, 0, s13                                     // 000000002C28: 820D0D80
	v_and_b32_e32 v4, 15, v0                                   // 000000002C2C: 2608008F
	v_lshlrev_b32_e32 v4, 2, v4                                // 000000002C30: 24080882
	buffer_load_dword v28, v4, s[12:15], 0 offen               // 000000002C34: E0501000 80031C04
	v_add_u32_e32 v4, 64, v4                                   // 000000002C3C: 680808C0
	buffer_load_dword v29, v4, s[12:15], 0 offen               // 000000002C40: E0501000 80031D04
	v_add_u32_e32 v4, 64, v4                                   // 000000002C48: 680808C0
	buffer_load_dword v30, v4, s[12:15], 0 offen               // 000000002C4C: E0501000 80031E04
	v_add_u32_e32 v4, 64, v4                                   // 000000002C54: 680808C0
	buffer_load_dword v31, v4, s[12:15], 0 offen               // 000000002C58: E0501000 80031F04
	v_add_u32_e32 v4, 64, v4                                   // 000000002C60: 680808C0
	buffer_load_dword v32, v4, s[12:15], 0 offen               // 000000002C64: E0501000 80032004
	v_add_u32_e32 v4, 64, v4                                   // 000000002C6C: 680808C0
	buffer_load_dword v33, v4, s[12:15], 0 offen               // 000000002C70: E0501000 80032104
	v_add_u32_e32 v4, 64, v4                                   // 000000002C78: 680808C0
	buffer_load_dword v34, v4, s[12:15], 0 offen               // 000000002C7C: E0501000 80032204
	v_add_u32_e32 v4, 64, v4                                   // 000000002C84: 680808C0
	s_mul_i32 s60, 4, s7                                       // 000000002C88: 923C0784
	v_lshlrev_b32_e32 v4, 4, v0                                // 000000002C8C: 24080084
	v_add_u32_e32 v4, s60, v4                                  // 000000002C90: 6808083C
	buffer_load_dword v3, v4, s[12:15], 0 offen                // 000000002C94: E0501000 80030304
	v_mov_b32_e32 v72, 0                                       // 000000002C9C: 7E900280
	v_mov_b32_e32 v100, 0                                      // 000000002CA0: 7EC80280
	v_mov_b32_e32 v73, 0                                       // 000000002CA4: 7E920280
	v_mov_b32_e32 v101, 0                                      // 000000002CA8: 7ECA0280
	v_mov_b32_e32 v74, 0                                       // 000000002CAC: 7E940280
	v_mov_b32_e32 v102, 0                                      // 000000002CB0: 7ECC0280
	v_mov_b32_e32 v75, 0                                       // 000000002CB4: 7E960280
	v_mov_b32_e32 v103, 0                                      // 000000002CB8: 7ECE0280
	v_mov_b32_e32 v76, 0                                       // 000000002CBC: 7E980280
	v_mov_b32_e32 v104, 0                                      // 000000002CC0: 7ED00280
	v_mov_b32_e32 v77, 0                                       // 000000002CC4: 7E9A0280
	v_mov_b32_e32 v105, 0                                      // 000000002CC8: 7ED20280
	v_mov_b32_e32 v78, 0                                       // 000000002CCC: 7E9C0280
	v_mov_b32_e32 v106, 0                                      // 000000002CD0: 7ED40280
	v_mov_b32_e32 v79, 0                                       // 000000002CD4: 7E9E0280
	v_mov_b32_e32 v107, 0                                      // 000000002CD8: 7ED60280
	v_mov_b32_e32 v80, 0                                       // 000000002CDC: 7EA00280
	v_mov_b32_e32 v108, 0                                      // 000000002CE0: 7ED80280
	v_mov_b32_e32 v81, 0                                       // 000000002CE4: 7EA20280
	v_mov_b32_e32 v109, 0                                      // 000000002CE8: 7EDA0280
	v_mov_b32_e32 v82, 0                                       // 000000002CEC: 7EA40280
	v_mov_b32_e32 v110, 0                                      // 000000002CF0: 7EDC0280
	v_mov_b32_e32 v83, 0                                       // 000000002CF4: 7EA60280
	v_mov_b32_e32 v111, 0                                      // 000000002CF8: 7EDE0280
	v_mov_b32_e32 v84, 0                                       // 000000002CFC: 7EA80280
	v_mov_b32_e32 v112, 0                                      // 000000002D00: 7EE00280
	v_mov_b32_e32 v85, 0                                       // 000000002D04: 7EAA0280
	v_mov_b32_e32 v113, 0                                      // 000000002D08: 7EE20280
	v_mov_b32_e32 v86, 0                                       // 000000002D0C: 7EAC0280
	v_mov_b32_e32 v114, 0                                      // 000000002D10: 7EE40280
	v_mov_b32_e32 v87, 0                                       // 000000002D14: 7EAE0280
	v_mov_b32_e32 v115, 0                                      // 000000002D18: 7EE60280
	v_mov_b32_e32 v88, 0                                       // 000000002D1C: 7EB00280
	v_mov_b32_e32 v116, 0                                      // 000000002D20: 7EE80280
	v_mov_b32_e32 v89, 0                                       // 000000002D24: 7EB20280
	v_mov_b32_e32 v117, 0                                      // 000000002D28: 7EEA0280
	v_mov_b32_e32 v90, 0                                       // 000000002D2C: 7EB40280
	v_mov_b32_e32 v118, 0                                      // 000000002D30: 7EEC0280
	v_mov_b32_e32 v91, 0                                       // 000000002D34: 7EB60280
	v_mov_b32_e32 v119, 0                                      // 000000002D38: 7EEE0280
	v_mov_b32_e32 v92, 0                                       // 000000002D3C: 7EB80280
	v_mov_b32_e32 v120, 0                                      // 000000002D40: 7EF00280
	v_mov_b32_e32 v93, 0                                       // 000000002D44: 7EBA0280
	v_mov_b32_e32 v121, 0                                      // 000000002D48: 7EF20280
	v_mov_b32_e32 v94, 0                                       // 000000002D4C: 7EBC0280
	v_mov_b32_e32 v122, 0                                      // 000000002D50: 7EF40280
	v_mov_b32_e32 v95, 0                                       // 000000002D54: 7EBE0280
	v_mov_b32_e32 v123, 0                                      // 000000002D58: 7EF60280
	v_mov_b32_e32 v96, 0                                       // 000000002D5C: 7EC00280
	v_mov_b32_e32 v124, 0                                      // 000000002D60: 7EF80280
	v_mov_b32_e32 v97, 0                                       // 000000002D64: 7EC20280
	v_mov_b32_e32 v125, 0                                      // 000000002D68: 7EFA0280
	v_mov_b32_e32 v98, 0                                       // 000000002D6C: 7EC40280
	v_mov_b32_e32 v126, 0                                      // 000000002D70: 7EFC0280
	v_mov_b32_e32 v99, 0                                       // 000000002D74: 7EC60280
	v_mov_b32_e32 v127, 0                                      // 000000002D78: 7EFE0280
	s_mul_i32 s60, s2, 0x80                                    // 000000002D7C: 923CFF02 00000080
	s_cmp_eq_u32 s88, 0                                        // 000000002D84: BF068058
	s_cselect_b32 s61, 1, 2                                    // 000000002D88: 853D8281
	s_mul_i32 s60, s60, s61                                    // 000000002D8C: 923C3D3C
	s_mov_b32 s90, s8                                          // 000000002D90: BEDA0008
	s_mov_b32 s91, s9                                          // 000000002D94: BEDB0009
	s_add_u32 s8, s60, s8                                      // 000000002D98: 8008083C
	s_addc_u32 s9, 0, s9                                       // 000000002D9C: 82090980
	v_lshrrev_b32_e32 v4, 4, v0                                // 000000002DA0: 20080084
	v_mul_lo_u32 v20, 34, v4                                   // 000000002DA4: D2850014 000208A2
	v_and_b32_e32 v4, 15, v0                                   // 000000002DAC: 2608008F
	v_mul_lo_u32 v5, 2, v4                                     // 000000002DB0: D2850005 00020882
	v_add_u32_e32 v20, v5, v20                                 // 000000002DB8: 68282905
	s_mul_i32 s60, s7, 0x88                                    // 000000002DBC: 923CFF07 00000088
	v_add_u32_e32 v20, s60, v20                                // 000000002DC4: 6828283C
	v_lshlrev_b32_e32 v20, 2, v20                              // 000000002DC8: 24282882
	v_and_b32_e32 v4, 31, v0                                   // 000000002DCC: 2608009F
	v_lshrrev_b32_e32 v4, 1, v4                                // 000000002DD0: 20080881
	v_mul_lo_u32 v21, 34, v4                                   // 000000002DD4: D2850015 000208A2
	v_lshrrev_b32_e32 v4, 5, v0                                // 000000002DDC: 20080085
	v_mul_lo_u32 v4, 8, v4                                     // 000000002DE0: D2850004 00020888
	v_add_u32_e32 v21, v21, v4                                 // 000000002DE8: 682A0915
	v_and_b32_e32 v5, 1, v0                                    // 000000002DEC: 260A0081
	v_add_u32_e32 v21, v5, v21                                 // 000000002DF0: 682A2B05
	s_mul_i32 s60, s7, 2                                       // 000000002DF4: 923C8207
	v_add_u32_e32 v21, s60, v21                                // 000000002DF8: 682A2A3C
	v_lshlrev_b32_e32 v21, 2, v21                              // 000000002DFC: 242A2A82
	s_mul_i32 s60, s7, 0xe20                                   // 000000002E00: 923CFF07 00000E20
	s_add_u32 s48, 0, s60                                      // 000000002E08: 80303C80
	s_add_u32 s49, 0x3880, s48                                 // 000000002E0C: 803130FF 00003880
	v_lshrrev_b32_e32 v4, 4, v0                                // 000000002E14: 20080084
	v_lshlrev_b32_e32 v5, 2, v4                                // 000000002E18: 240A0882
	v_and_b32_e32 v4, 15, v0                                   // 000000002E1C: 2608008F
	v_lshrrev_b32_e32 v6, 2, v4                                // 000000002E20: 200C0882
	v_lshlrev_b32_e32 v6, 5, v6                                // 000000002E24: 240C0C85
	v_add_u32_e32 v5, v6, v5                                   // 000000002E28: 680A0B06
	v_and_b32_e32 v4, 3, v0                                    // 000000002E2C: 26080083
	v_mul_u32_u24_e32 v6, 0x388, v4                            // 000000002E30: 100C08FF 00000388
	v_add_u32_e32 v5, v6, v5                                   // 000000002E38: 680A0B06
	v_lshlrev_b32_e32 v2, 2, v5                                // 000000002E3C: 24040A82
	s_waitcnt lgkmcnt(0)                                       // 000000002E40: BF8CC07F
	s_mul_i32 s60, s2, 64                                      // 000000002E44: 923CC002
	s_mul_i32 s60, s60, s69                                    // 000000002E48: 923C453C
	s_mul_i32 s61, s5, s72                                     // 000000002E4C: 923D4805
	s_add_u32 s60, s61, s60                                    // 000000002E50: 803C3C3D
	s_add_u32 s24, s60, s24                                    // 000000002E54: 8018183C
	s_addc_u32 s25, 0, s25                                     // 000000002E58: 82191980
	s_lshr_b32 s60, s64, s88                                   // 000000002E5C: 8F3C5840
	s_mul_i32 s60, s4, s60                                     // 000000002E60: 923C3C04
	s_lshr_b32 s60, s60, 7                                     // 000000002E64: 8F3C873C
	s_mul_i32 s60, s60, 0x800                                  // 000000002E68: 923CFF3C 00000800
	s_add_u32 s24, s60, s24                                    // 000000002E70: 8018183C
	s_addc_u32 s25, 0, s25                                     // 000000002E74: 82191980
	s_lshr_b32 s60, s69, s88                                   // 000000002E78: 8F3C5845
	s_mul_i32 s60, s4, s60                                     // 000000002E7C: 923C3C04
	s_add_u32 s20, s60, s20                                    // 000000002E80: 8014143C
	s_addc_u32 s21, 0, s21                                     // 000000002E84: 82151580
	s_mul_i32 s60, s7, 16                                      // 000000002E88: 923C9007
	s_mul_i32 s60, s60, s69                                    // 000000002E8C: 923C453C
	v_lshlrev_b32_e32 v70, 4, v0                               // 000000002E90: 248C0084
	v_add_u32_e32 v70, s60, v70                                // 000000002E94: 688C8C3C
	s_mul_i32 s60, 64, s69                                     // 000000002E98: 923C45C0
	s_mov_b32 s84, s24                                         // 000000002E9C: BED40018
	s_mov_b32 s85, s25                                         // 000000002EA0: BED50019
	s_mov_b32 s86, s26                                         // 000000002EA4: BED6001A
	s_mov_b32 s87, s27                                         // 000000002EA8: BED7001B
	s_mul_i32 s60, s69, s65                                    // 000000002EAC: 923C4145
	s_add_u32 s84, s60, s84                                    // 000000002EB0: 8054543C
	s_addc_u32 s85, 0, s85                                     // 000000002EB4: 82555580
	v_lshrrev_b32_e32 v4, 4, v0                                // 000000002EB8: 20080084
	v_lshlrev_b32_e32 v5, 2, v4                                // 000000002EBC: 240A0882
	v_and_b32_e32 v4, 15, v0                                   // 000000002EC0: 2608008F
	v_lshrrev_b32_e32 v6, 2, v4                                // 000000002EC4: 200C0882
	v_lshlrev_b32_e32 v6, 6, v6                                // 000000002EC8: 240C0C86
	v_add_u32_e32 v5, v6, v5                                   // 000000002ECC: 680A0B06
	v_and_b32_e32 v4, 3, v0                                    // 000000002ED0: 26080083
	v_add_u32_e32 v5, v4, v5                                   // 000000002ED4: 680A0B04
	v_lshlrev_b32_e32 v22, 2, v5                               // 000000002ED8: 242C0A82
	s_mul_i32 s60, s7, 16                                      // 000000002EDC: 923C9007
	s_mul_i32 s60, s60, 4                                      // 000000002EE0: 923C843C
	v_add_u32_e32 v22, s60, v22                                // 000000002EE4: 682C2C3C
	s_mul_i32 s60, s2, 64                                      // 000000002EE8: 923CC002
	s_mul_i32 s60, s60, 4                                      // 000000002EEC: 923C843C
	s_mul_i32 s61, s5, s74                                     // 000000002EF0: 923D4A05
	s_add_u32 s61, s61, s60                                    // 000000002EF4: 803D3C3D
	s_add_u32 s32, s61, s32                                    // 000000002EF8: 8020203D
	s_addc_u32 s33, 0, s33                                     // 000000002EFC: 82212180
	s_mov_b32 s57, 0x80                                        // 000000002F00: BEB900FF 00000080
	s_mov_b32 s58, 0x800                                       // 000000002F08: BEBA00FF 00000800
	s_mov_b32 s83, s58                                         // 000000002F10: BED3003A
	s_mov_b32 s52, 0x7060302                                   // 000000002F14: BEB400FF 07060302
	s_mov_b32 s53, 0x400                                       // 000000002F1C: BEB500FF 00000400
	s_mov_b32 s54, 0x40100                                     // 000000002F24: BEB600FF 00040100
	s_mov_b32 s55, 0x4020100                                   // 000000002F2C: BEB700FF 04020100
	s_mov_b32 s6, 0x3fb8aa3b                                   // 000000002F34: BE8600FF 3FB8AA3B
	s_mov_b32 s78, 0xbd92220c                                  // 000000002F3C: BECE00FF BD92220C
	s_mov_b32 s79, 0xbd92220c                                  // 000000002F44: BECF00FF BD92220C
	s_mov_b32 m0, s48                                          // 000000002F4C: BEFC0030
	v_mov_b32_e32 v1, 0xbfcc4231                               // 000000002F50: 7E0202FF BFCC4231
	v_mov_b32_e32 v17, 0xffff0000                              // 000000002F58: 7E2202FF FFFF0000
	v_mov_b32_e32 v18, 0x7fff0000                              // 000000002F60: 7E2402FF 7FFF0000
	v_mov_b32_e32 v19, 0x7fff                                  // 000000002F68: 7E2602FF 00007FFF
	s_waitcnt vmcnt(0) expcnt(0) lgkmcnt(0)                    // 000000002F70: BF8C0000
	v_lshrrev_b32_e32 v4, 5, v0                                // 000000002F74: 20080085
	v_xor_b32_e32 v5, 1, v4                                    // 000000002F78: 2A0A0881
	v_readlane_b32 s82, v3, 0                                  // 000000002F7C: D2890052 00010103
	s_and_b32 s82, s82, 0xffffff                               // 000000002F84: 8652FF52 00FFFFFF
	v_mul_lo_u32 v6, v5, s82                                   // 000000002F8C: D2850006 0000A505
	v_readlane_b32 s82, v3, 1                                  // 000000002F94: D2890052 00010303
	s_and_b32 s82, s82, 0xffffff                               // 000000002F9C: 8652FF52 00FFFFFF
	v_mul_lo_u32 v7, v4, s82                                   // 000000002FA4: D2850007 0000A504
	v_add_u32_e32 v56, v6, v7                                  // 000000002FAC: 68700F06
	v_mul_lo_u32 v56, v56, s68                                 // 000000002FB0: D2850038 00008938
	v_readlane_b32 s82, v3, 2                                  // 000000002FB8: D2890052 00010503
	s_and_b32 s82, s82, 0xffffff                               // 000000002FC0: 8652FF52 00FFFFFF
	v_mul_lo_u32 v6, v5, s82                                   // 000000002FC8: D2850006 0000A505
	v_readlane_b32 s82, v3, 3                                  // 000000002FD0: D2890052 00010703
	s_and_b32 s82, s82, 0xffffff                               // 000000002FD8: 8652FF52 00FFFFFF
	v_mul_lo_u32 v7, v4, s82                                   // 000000002FE0: D2850007 0000A504
	v_add_u32_e32 v57, v6, v7                                  // 000000002FE8: 68720F06
	v_mul_lo_u32 v57, v57, s68                                 // 000000002FEC: D2850039 00008939
	v_readlane_b32 s82, v3, 4                                  // 000000002FF4: D2890052 00010903
	s_and_b32 s82, s82, 0xffffff                               // 000000002FFC: 8652FF52 00FFFFFF
	v_mul_lo_u32 v6, v5, s82                                   // 000000003004: D2850006 0000A505
	v_readlane_b32 s82, v3, 5                                  // 00000000300C: D2890052 00010B03
	s_and_b32 s82, s82, 0xffffff                               // 000000003014: 8652FF52 00FFFFFF
	v_mul_lo_u32 v7, v4, s82                                   // 00000000301C: D2850007 0000A504
	v_add_u32_e32 v58, v6, v7                                  // 000000003024: 68740F06
	v_mul_lo_u32 v58, v58, s68                                 // 000000003028: D285003A 0000893A
	v_readlane_b32 s82, v3, 6                                  // 000000003030: D2890052 00010D03
	s_and_b32 s82, s82, 0xffffff                               // 000000003038: 8652FF52 00FFFFFF
	v_mul_lo_u32 v6, v5, s82                                   // 000000003040: D2850006 0000A505
	v_readlane_b32 s82, v3, 7                                  // 000000003048: D2890052 00010F03
	s_and_b32 s82, s82, 0xffffff                               // 000000003050: 8652FF52 00FFFFFF
	v_mul_lo_u32 v7, v4, s82                                   // 000000003058: D2850007 0000A504
	v_add_u32_e32 v59, v6, v7                                  // 000000003060: 68760F06
	v_mul_lo_u32 v59, v59, s68                                 // 000000003064: D285003B 0000893B
	v_readlane_b32 s82, v3, 8                                  // 00000000306C: D2890052 00011103
	s_and_b32 s82, s82, 0xffffff                               // 000000003074: 8652FF52 00FFFFFF
	v_mul_lo_u32 v6, v5, s82                                   // 00000000307C: D2850006 0000A505
	v_readlane_b32 s82, v3, 9                                  // 000000003084: D2890052 00011303
	s_and_b32 s82, s82, 0xffffff                               // 00000000308C: 8652FF52 00FFFFFF
	v_mul_lo_u32 v7, v4, s82                                   // 000000003094: D2850007 0000A504
	v_add_u32_e32 v60, v6, v7                                  // 00000000309C: 68780F06
	v_mul_lo_u32 v60, v60, s68                                 // 0000000030A0: D285003C 0000893C
	v_readlane_b32 s82, v3, 10                                 // 0000000030A8: D2890052 00011503
	s_and_b32 s82, s82, 0xffffff                               // 0000000030B0: 8652FF52 00FFFFFF
	v_mul_lo_u32 v6, v5, s82                                   // 0000000030B8: D2850006 0000A505
	v_readlane_b32 s82, v3, 11                                 // 0000000030C0: D2890052 00011703
	s_and_b32 s82, s82, 0xffffff                               // 0000000030C8: 8652FF52 00FFFFFF
	v_mul_lo_u32 v7, v4, s82                                   // 0000000030D0: D2850007 0000A504
	v_add_u32_e32 v61, v6, v7                                  // 0000000030D8: 687A0F06
	v_mul_lo_u32 v61, v61, s68                                 // 0000000030DC: D285003D 0000893D
	v_readlane_b32 s82, v3, 12                                 // 0000000030E4: D2890052 00011903
	s_and_b32 s82, s82, 0xffffff                               // 0000000030EC: 8652FF52 00FFFFFF
	v_mul_lo_u32 v6, v5, s82                                   // 0000000030F4: D2850006 0000A505
	v_readlane_b32 s82, v3, 13                                 // 0000000030FC: D2890052 00011B03
	s_and_b32 s82, s82, 0xffffff                               // 000000003104: 8652FF52 00FFFFFF
	v_mul_lo_u32 v7, v4, s82                                   // 00000000310C: D2850007 0000A504
	v_add_u32_e32 v62, v6, v7                                  // 000000003114: 687C0F06
	v_mul_lo_u32 v62, v62, s68                                 // 000000003118: D285003E 0000893E
	v_readlane_b32 s82, v3, 14                                 // 000000003120: D2890052 00011D03
	s_and_b32 s82, s82, 0xffffff                               // 000000003128: 8652FF52 00FFFFFF
	v_mul_lo_u32 v6, v5, s82                                   // 000000003130: D2850006 0000A505
	v_readlane_b32 s82, v3, 15                                 // 000000003138: D2890052 00011F03
	s_and_b32 s82, s82, 0xffffff                               // 000000003140: 8652FF52 00FFFFFF
	v_mul_lo_u32 v7, v4, s82                                   // 000000003148: D2850007 0000A504
	v_add_u32_e32 v63, v6, v7                                  // 000000003150: 687E0F06
	v_mul_lo_u32 v63, v63, s68                                 // 000000003154: D285003F 0000893F
	v_readlane_b32 s82, v3, 16                                 // 00000000315C: D2890052 00012103
	s_and_b32 s82, s82, 0xffffff                               // 000000003164: 8652FF52 00FFFFFF
	v_mul_lo_u32 v6, v5, s82                                   // 00000000316C: D2850006 0000A505
	v_readlane_b32 s82, v3, 17                                 // 000000003174: D2890052 00012303
	s_and_b32 s82, s82, 0xffffff                               // 00000000317C: 8652FF52 00FFFFFF
	v_mul_lo_u32 v7, v4, s82                                   // 000000003184: D2850007 0000A504
	v_add_u32_e32 v64, v6, v7                                  // 00000000318C: 68800F06
	v_mul_lo_u32 v64, v64, s68                                 // 000000003190: D2850040 00008940
	v_readlane_b32 s82, v3, 18                                 // 000000003198: D2890052 00012503
	s_and_b32 s82, s82, 0xffffff                               // 0000000031A0: 8652FF52 00FFFFFF
	v_mul_lo_u32 v6, v5, s82                                   // 0000000031A8: D2850006 0000A505
	v_readlane_b32 s82, v3, 19                                 // 0000000031B0: D2890052 00012703
	s_and_b32 s82, s82, 0xffffff                               // 0000000031B8: 8652FF52 00FFFFFF
	v_mul_lo_u32 v7, v4, s82                                   // 0000000031C0: D2850007 0000A504
	v_add_u32_e32 v65, v6, v7                                  // 0000000031C8: 68820F06
	v_mul_lo_u32 v65, v65, s68                                 // 0000000031CC: D2850041 00008941
	v_readlane_b32 s82, v3, 20                                 // 0000000031D4: D2890052 00012903
	s_and_b32 s82, s82, 0xffffff                               // 0000000031DC: 8652FF52 00FFFFFF
	v_mul_lo_u32 v6, v5, s82                                   // 0000000031E4: D2850006 0000A505
	v_readlane_b32 s82, v3, 21                                 // 0000000031EC: D2890052 00012B03
	s_and_b32 s82, s82, 0xffffff                               // 0000000031F4: 8652FF52 00FFFFFF
	v_mul_lo_u32 v7, v4, s82                                   // 0000000031FC: D2850007 0000A504
	v_add_u32_e32 v66, v6, v7                                  // 000000003204: 68840F06
	v_mul_lo_u32 v66, v66, s68                                 // 000000003208: D2850042 00008942
	v_readlane_b32 s82, v3, 22                                 // 000000003210: D2890052 00012D03
	s_and_b32 s82, s82, 0xffffff                               // 000000003218: 8652FF52 00FFFFFF
	v_mul_lo_u32 v6, v5, s82                                   // 000000003220: D2850006 0000A505
	v_readlane_b32 s82, v3, 23                                 // 000000003228: D2890052 00012F03
	s_and_b32 s82, s82, 0xffffff                               // 000000003230: 8652FF52 00FFFFFF
	v_mul_lo_u32 v7, v4, s82                                   // 000000003238: D2850007 0000A504
	v_add_u32_e32 v67, v6, v7                                  // 000000003240: 68860F06
	v_mul_lo_u32 v67, v67, s68                                 // 000000003244: D2850043 00008943
	v_readlane_b32 s82, v3, 24                                 // 00000000324C: D2890052 00013103
	s_and_b32 s82, s82, 0xffffff                               // 000000003254: 8652FF52 00FFFFFF
	v_mul_lo_u32 v6, v5, s82                                   // 00000000325C: D2850006 0000A505
	v_readlane_b32 s82, v3, 25                                 // 000000003264: D2890052 00013303
	s_and_b32 s82, s82, 0xffffff                               // 00000000326C: 8652FF52 00FFFFFF
	v_mul_lo_u32 v7, v4, s82                                   // 000000003274: D2850007 0000A504
	v_add_u32_e32 v68, v6, v7                                  // 00000000327C: 68880F06
	v_mul_lo_u32 v68, v68, s68                                 // 000000003280: D2850044 00008944
	v_readlane_b32 s82, v3, 26                                 // 000000003288: D2890052 00013503
	s_and_b32 s82, s82, 0xffffff                               // 000000003290: 8652FF52 00FFFFFF
	v_mul_lo_u32 v6, v5, s82                                   // 000000003298: D2850006 0000A505
	v_readlane_b32 s82, v3, 27                                 // 0000000032A0: D2890052 00013703
	s_and_b32 s82, s82, 0xffffff                               // 0000000032A8: 8652FF52 00FFFFFF
	v_mul_lo_u32 v7, v4, s82                                   // 0000000032B0: D2850007 0000A504
	v_add_u32_e32 v69, v6, v7                                  // 0000000032B8: 688A0F06
	v_mul_lo_u32 v69, v69, s68                                 // 0000000032BC: D2850045 00008945
	v_and_b32_e32 v4, 31, v0                                   // 0000000032C4: 2608009F
	v_lshlrev_b32_e32 v4, 2, v4                                // 0000000032C8: 24080882
	v_add_u32_e32 v56, v56, v4                                 // 0000000032CC: 68700938
	v_add_u32_e32 v57, v57, v4                                 // 0000000032D0: 68720939
	v_add_u32_e32 v58, v58, v4                                 // 0000000032D4: 6874093A
	v_add_u32_e32 v59, v59, v4                                 // 0000000032D8: 6876093B
	v_add_u32_e32 v60, v60, v4                                 // 0000000032DC: 6878093C
	v_add_u32_e32 v61, v61, v4                                 // 0000000032E0: 687A093D
	v_add_u32_e32 v62, v62, v4                                 // 0000000032E4: 687C093E
	v_add_u32_e32 v63, v63, v4                                 // 0000000032E8: 687E093F
	v_add_u32_e32 v64, v64, v4                                 // 0000000032EC: 68800940
	v_add_u32_e32 v65, v65, v4                                 // 0000000032F0: 68820941
	v_add_u32_e32 v66, v66, v4                                 // 0000000032F4: 68840942
	v_add_u32_e32 v67, v67, v4                                 // 0000000032F8: 68860943
	v_add_u32_e32 v68, v68, v4                                 // 0000000032FC: 68880944
	v_add_u32_e32 v69, v69, v4                                 // 000000003300: 688A0945
	v_and_b32_e32 v28, 0xffffff, v28                           // 000000003304: 263838FF 00FFFFFF
	v_lshlrev_b32_e32 v28, 2, v28                              // 00000000330C: 24383882
	v_and_b32_e32 v29, 0xffffff, v29                           // 000000003310: 263A3AFF 00FFFFFF
	v_lshlrev_b32_e32 v29, 2, v29                              // 000000003318: 243A3A82
	v_and_b32_e32 v30, 0xffffff, v30                           // 00000000331C: 263C3CFF 00FFFFFF
	v_lshlrev_b32_e32 v30, 2, v30                              // 000000003324: 243C3C82
	v_and_b32_e32 v31, 0xffffff, v31                           // 000000003328: 263E3EFF 00FFFFFF
	v_lshlrev_b32_e32 v31, 2, v31                              // 000000003330: 243E3E82
	v_and_b32_e32 v32, 0xffffff, v32                           // 000000003334: 264040FF 00FFFFFF
	v_lshlrev_b32_e32 v32, 2, v32                              // 00000000333C: 24404082
	v_and_b32_e32 v33, 0xffffff, v33                           // 000000003340: 264242FF 00FFFFFF
	v_lshlrev_b32_e32 v33, 2, v33                              // 000000003348: 24424282
	v_and_b32_e32 v34, 0xffffff, v34                           // 00000000334C: 264444FF 00FFFFFF
	v_lshlrev_b32_e32 v34, 2, v34                              // 000000003354: 24444482
	s_lshl_b32 s3, s66, 2                                      // 000000003358: 8E038242
	buffer_load_dword v35, v28, s[28:31], 0 offen              // 00000000335C: E0501000 8007231C
	buffer_load_dword v36, v29, s[28:31], 0 offen              // 000000003364: E0501000 8007241D
	buffer_load_dword v37, v30, s[28:31], 0 offen              // 00000000336C: E0501000 8007251E
	buffer_load_dword v38, v31, s[28:31], 0 offen              // 000000003374: E0501000 8007261F
	buffer_load_dword v39, v32, s[28:31], 0 offen              // 00000000337C: E0501000 80072720
	buffer_load_dword v40, v33, s[28:31], 0 offen              // 000000003384: E0501000 80072821
	buffer_load_dword v41, v34, s[28:31], 0 offen              // 00000000338C: E0501000 80072922
	buffer_load_dword v24, v22, s[32:35], 0 offen              // 000000003394: E0501000 80081816
	s_mul_i32 s60, 4, s65                                      // 00000000339C: 923C4184
	s_add_u32 s32, s60, s32                                    // 0000000033A0: 8020203C
	s_addc_u32 s33, 0, s33                                     // 0000000033A4: 82212180
	buffer_load_dword v26, v22, s[32:35], 0 offen              // 0000000033A8: E0501000 80081A16
	buffer_load_dword v56, s[20:23], 0 offen lds               // 0000000033B0: E0511000 80050038
	s_add_u32 m0, 0x100, s48                                   // 0000000033B8: 807C30FF 00000100
	buffer_load_dword v57, s[20:23], 0 offen lds               // 0000000033C0: E0511000 80050039
	s_add_u32 m0, 0x200, s48                                   // 0000000033C8: 807C30FF 00000200
	buffer_load_dword v58, s[20:23], 0 offen lds               // 0000000033D0: E0511000 8005003A
	s_add_u32 m0, 0x300, s48                                   // 0000000033D8: 807C30FF 00000300
	buffer_load_dword v59, s[20:23], 0 offen lds               // 0000000033E0: E0511000 8005003B
	s_add_u32 m0, 0x400, s48                                   // 0000000033E8: 807C30FF 00000400
	buffer_load_dword v60, s[20:23], 0 offen lds               // 0000000033F0: E0511000 8005003C
	s_add_u32 m0, 0x500, s48                                   // 0000000033F8: 807C30FF 00000500
	buffer_load_dword v61, s[20:23], 0 offen lds               // 000000003400: E0511000 8005003D
	s_add_u32 m0, 0x600, s48                                   // 000000003408: 807C30FF 00000600
	buffer_load_dword v62, s[20:23], 0 offen lds               // 000000003410: E0511000 8005003E
	s_add_u32 m0, 0x700, s48                                   // 000000003418: 807C30FF 00000700
	buffer_load_dword v63, s[20:23], 0 offen lds               // 000000003420: E0511000 8005003F
	s_add_u32 m0, 0x800, s48                                   // 000000003428: 807C30FF 00000800
	buffer_load_dword v64, s[20:23], 0 offen lds               // 000000003430: E0511000 80050040
	s_add_u32 m0, 0x900, s48                                   // 000000003438: 807C30FF 00000900
	buffer_load_dword v65, s[20:23], 0 offen lds               // 000000003440: E0511000 80050041
	s_add_u32 m0, 0xa00, s48                                   // 000000003448: 807C30FF 00000A00
	buffer_load_dword v66, s[20:23], 0 offen lds               // 000000003450: E0511000 80050042
	s_add_u32 m0, 0xb00, s48                                   // 000000003458: 807C30FF 00000B00
	buffer_load_dword v67, s[20:23], 0 offen lds               // 000000003460: E0511000 80050043
	s_add_u32 m0, 0xc00, s48                                   // 000000003468: 807C30FF 00000C00
	buffer_load_dword v68, s[20:23], 0 offen lds               // 000000003470: E0511000 80050044
	s_add_u32 m0, 0xd00, s48                                   // 000000003478: 807C30FF 00000D00
	buffer_load_dword v69, s[20:23], 0 offen lds               // 000000003480: E0511000 80050045
	s_add_u32 m0, 0, s49                                       // 000000003488: 807C3180
	s_add_u32 s20, s57, s20                                    // 00000000348C: 80141439
	s_addc_u32 s21, 0, s21                                     // 000000003490: 82151580
	buffer_load_dword v56, s[20:23], 0 offen lds               // 000000003494: E0511000 80050038
	s_add_u32 m0, 0x100, s49                                   // 00000000349C: 807C31FF 00000100
	buffer_load_dword v57, s[20:23], 0 offen lds               // 0000000034A4: E0511000 80050039
	s_add_u32 m0, 0x200, s49                                   // 0000000034AC: 807C31FF 00000200
	buffer_load_dword v58, s[20:23], 0 offen lds               // 0000000034B4: E0511000 8005003A
	s_add_u32 m0, 0x300, s49                                   // 0000000034BC: 807C31FF 00000300
	buffer_load_dword v59, s[20:23], 0 offen lds               // 0000000034C4: E0511000 8005003B
	s_add_u32 m0, 0x400, s49                                   // 0000000034CC: 807C31FF 00000400
	buffer_load_dword v60, s[20:23], 0 offen lds               // 0000000034D4: E0511000 8005003C
	s_add_u32 m0, 0x500, s49                                   // 0000000034DC: 807C31FF 00000500
	buffer_load_dword v61, s[20:23], 0 offen lds               // 0000000034E4: E0511000 8005003D
	s_add_u32 m0, 0x600, s49                                   // 0000000034EC: 807C31FF 00000600
	buffer_load_dword v62, s[20:23], 0 offen lds               // 0000000034F4: E0511000 8005003E
	s_add_u32 m0, 0x700, s49                                   // 0000000034FC: 807C31FF 00000700
	buffer_load_dword v63, s[20:23], 0 offen lds               // 000000003504: E0511000 8005003F
	s_add_u32 m0, 0x800, s49                                   // 00000000350C: 807C31FF 00000800
	buffer_load_dword v64, s[20:23], 0 offen lds               // 000000003514: E0511000 80050040
	s_add_u32 m0, 0x900, s49                                   // 00000000351C: 807C31FF 00000900
	buffer_load_dword v65, s[20:23], 0 offen lds               // 000000003524: E0511000 80050041
	s_add_u32 m0, 0xa00, s49                                   // 00000000352C: 807C31FF 00000A00
	buffer_load_dword v66, s[20:23], 0 offen lds               // 000000003534: E0511000 80050042
	s_add_u32 m0, 0xb00, s49                                   // 00000000353C: 807C31FF 00000B00
	buffer_load_dword v67, s[20:23], 0 offen lds               // 000000003544: E0511000 80050043
	s_add_u32 m0, 0xc00, s49                                   // 00000000354C: 807C31FF 00000C00
	buffer_load_dword v68, s[20:23], 0 offen lds               // 000000003554: E0511000 80050044
	s_add_u32 m0, 0xd00, s49                                   // 00000000355C: 807C31FF 00000D00
	buffer_load_dword v69, s[20:23], 0 offen lds               // 000000003564: E0511000 80050045
	s_add_u32 m0, 0, s48                                       // 00000000356C: 807C3080
	s_add_u32 s20, s57, s20                                    // 000000003570: 80141439
	s_addc_u32 s21, 0, s21                                     // 000000003574: 82151580
	buffer_load_dwordx4 a[112:115], v70, s[24:27], 0 offen     // 000000003578: E05C1000 80867046
	buffer_load_dwordx4 a[116:119], v70, s[24:27], 0 offen offset:1024// 000000003580: E05C1400 80867446
	s_add_u32 s24, s58, s24                                    // 000000003588: 8018183A
	s_addc_u32 s25, 0, s25                                     // 00000000358C: 82191980
	s_waitcnt vmcnt(16)                                        // 000000003590: BF8C4F70
	s_barrier                                                  // 000000003594: BF8A0000
	ds_read_b128 a[0:3], v2                                    // 000000003598: DBFE0000 00000002
	ds_read_b128 a[4:7], v2 offset:64                          // 0000000035A0: DBFE0040 04000002
	ds_read_b128 a[8:11], v2 offset:512                        // 0000000035A8: DBFE0200 08000002
	ds_read_b128 a[12:15], v2 offset:576                       // 0000000035B0: DBFE0240 0C000002
	ds_read_b128 a[16:19], v2 offset:1024                      // 0000000035B8: DBFE0400 10000002
	ds_read_b128 a[20:23], v2 offset:1088                      // 0000000035C0: DBFE0440 14000002
	ds_read_b128 a[24:27], v2 offset:1536                      // 0000000035C8: DBFE0600 18000002
	ds_read_b128 a[28:31], v2 offset:1600                      // 0000000035D0: DBFE0640 1C000002
	ds_read_b128 a[32:35], v2 offset:2048                      // 0000000035D8: DBFE0800 20000002
	ds_read_b128 a[36:39], v2 offset:2112                      // 0000000035E0: DBFE0840 24000002
	ds_read_b128 a[40:43], v2 offset:2560                      // 0000000035E8: DBFE0A00 28000002
	ds_read_b128 a[44:47], v2 offset:2624                      // 0000000035F0: DBFE0A40 2C000002
	ds_read_b128 a[48:51], v2 offset:3072                      // 0000000035F8: DBFE0C00 30000002
	ds_read_b128 a[52:55], v2 offset:3136                      // 000000003600: DBFE0C40 34000002
	s_cmp_lt_i32 s7, 2                                         // 000000003608: BF048207
	s_cbranch_scc0 label_10B3                                  // 00000000360C: BF840DAC

0000000000003610 <label_0304>:
	s_waitcnt vmcnt(0) lgkmcnt(0)                              // 000000003610: BF8C0070
	s_barrier                                                  // 000000003614: BF8A0000
	v_mfma_f32_16x16x32_fp8_fp8 v[72:75], a[112:113], a[0:1], v[72:75]// 000000003618: D3F30048 1D220170
	v_mfma_f32_16x16x32_fp8_fp8 v[72:75], a[114:115], a[2:3], v[72:75]// 000000003620: D3F30048 1D220572
	buffer_load_dwordx4 a[120:123], v70, s[84:87], 0 offen     // 000000003628: E05C1000 80957846
	v_mfma_f32_16x16x32_fp8_fp8 v[72:75], a[116:117], a[4:5], v[72:75]// 000000003630: D3F30048 1D220974
	v_mfma_f32_16x16x32_fp8_fp8 v[72:75], a[118:119], a[6:7], v[72:75]// 000000003638: D3F30048 1D220D76
	v_mfma_f32_16x16x32_fp8_fp8 v[76:79], a[112:113], a[8:9], v[76:79]// 000000003640: D3F3004C 1D321170
	v_mfma_f32_16x16x32_fp8_fp8 v[76:79], a[114:115], a[10:11], v[76:79]// 000000003648: D3F3004C 1D321572
	buffer_load_dwordx4 a[124:127], v70, s[84:87], 0 offen offset:1024// 000000003650: E05C1400 80957C46
	buffer_load_dword v56, s[20:23], 0 offen lds               // 000000003658: E0511000 80050038
	s_add_u32 m0, 0x100, s48                                   // 000000003660: 807C30FF 00000100
	v_mfma_f32_16x16x32_fp8_fp8 v[76:79], a[116:117], a[12:13], v[76:79]// 000000003668: D3F3004C 1D321974
	v_mfma_f32_16x16x32_fp8_fp8 v[76:79], a[118:119], a[14:15], v[76:79]// 000000003670: D3F3004C 1D321D76
	buffer_load_dword v57, s[20:23], 0 offen lds               // 000000003678: E0511000 80050039
	s_add_u32 m0, 0x200, s48                                   // 000000003680: 807C30FF 00000200
	v_mfma_f32_16x16x32_fp8_fp8 v[80:83], a[112:113], a[16:17], v[80:83]// 000000003688: D3F30050 1D422170
	v_mfma_f32_16x16x32_fp8_fp8 v[80:83], a[114:115], a[18:19], v[80:83]// 000000003690: D3F30050 1D422572
	buffer_load_dword v58, s[20:23], 0 offen lds               // 000000003698: E0511000 8005003A
	s_add_u32 m0, 0x300, s48                                   // 0000000036A0: 807C30FF 00000300
	v_mfma_f32_16x16x32_fp8_fp8 v[80:83], a[116:117], a[20:21], v[80:83]// 0000000036A8: D3F30050 1D422974
	v_mfma_f32_16x16x32_fp8_fp8 v[80:83], a[118:119], a[22:23], v[80:83]// 0000000036B0: D3F30050 1D422D76
	buffer_load_dword v59, s[20:23], 0 offen lds               // 0000000036B8: E0511000 8005003B
	s_add_u32 m0, 0x400, s48                                   // 0000000036C0: 807C30FF 00000400
	v_mfma_f32_16x16x32_fp8_fp8 v[84:87], a[112:113], a[24:25], v[84:87]// 0000000036C8: D3F30054 1D523170
	v_mfma_f32_16x16x32_fp8_fp8 v[84:87], a[114:115], a[26:27], v[84:87]// 0000000036D0: D3F30054 1D523572
	buffer_load_dword v60, s[20:23], 0 offen lds               // 0000000036D8: E0511000 8005003C
	s_add_u32 m0, 0x500, s48                                   // 0000000036E0: 807C30FF 00000500
	v_mfma_f32_16x16x32_fp8_fp8 v[84:87], a[116:117], a[28:29], v[84:87]// 0000000036E8: D3F30054 1D523974
	v_mfma_f32_16x16x32_fp8_fp8 v[84:87], a[118:119], a[30:31], v[84:87]// 0000000036F0: D3F30054 1D523D76
	buffer_load_dword v61, s[20:23], 0 offen lds               // 0000000036F8: E0511000 8005003D
	s_add_u32 m0, 0x600, s48                                   // 000000003700: 807C30FF 00000600
	v_mfma_f32_16x16x32_fp8_fp8 v[88:91], a[112:113], a[32:33], v[88:91]// 000000003708: D3F30058 1D624170
	v_mfma_f32_16x16x32_fp8_fp8 v[88:91], a[114:115], a[34:35], v[88:91]// 000000003710: D3F30058 1D624572
	buffer_load_dword v62, s[20:23], 0 offen lds               // 000000003718: E0511000 8005003E
	s_add_u32 m0, 0x700, s48                                   // 000000003720: 807C30FF 00000700
	v_mfma_f32_16x16x32_fp8_fp8 v[88:91], a[116:117], a[36:37], v[88:91]// 000000003728: D3F30058 1D624974
	v_mfma_f32_16x16x32_fp8_fp8 v[88:91], a[118:119], a[38:39], v[88:91]// 000000003730: D3F30058 1D624D76
	buffer_load_dword v63, s[20:23], 0 offen lds               // 000000003738: E0511000 8005003F
	s_add_u32 m0, 0x800, s48                                   // 000000003740: 807C30FF 00000800
	v_mfma_f32_16x16x32_fp8_fp8 v[92:95], a[112:113], a[40:41], v[92:95]// 000000003748: D3F3005C 1D725170
	v_mfma_f32_16x16x32_fp8_fp8 v[92:95], a[114:115], a[42:43], v[92:95]// 000000003750: D3F3005C 1D725572
	buffer_load_dword v64, s[20:23], 0 offen lds               // 000000003758: E0511000 80050040
	s_add_u32 m0, 0x900, s48                                   // 000000003760: 807C30FF 00000900
	v_mfma_f32_16x16x32_fp8_fp8 v[92:95], a[116:117], a[44:45], v[92:95]// 000000003768: D3F3005C 1D725974
	v_mfma_f32_16x16x32_fp8_fp8 v[92:95], a[118:119], a[46:47], v[92:95]// 000000003770: D3F3005C 1D725D76
	buffer_load_dword v65, s[20:23], 0 offen lds               // 000000003778: E0511000 80050041
	s_add_u32 m0, 0xa00, s48                                   // 000000003780: 807C30FF 00000A00
	v_mfma_f32_16x16x32_fp8_fp8 v[96:99], a[112:113], a[48:49], v[96:99]// 000000003788: D3F30060 1D826170
	v_mfma_f32_16x16x32_fp8_fp8 v[96:99], a[114:115], a[50:51], v[96:99]// 000000003790: D3F30060 1D826572
	buffer_load_dword v66, s[20:23], 0 offen lds               // 000000003798: E0511000 80050042
	s_add_u32 m0, 0xb00, s48                                   // 0000000037A0: 807C30FF 00000B00
	s_add_u32 s60, 0x80, s80                                   // 0000000037A8: 803C50FF 00000080
	s_cmp_lt_u32 s60, s81                                      // 0000000037B0: BF0A513C
	s_cselect_b32 s83, s83, 0                                  // 0000000037B4: 85538053
	v_mfma_f32_16x16x32_fp8_fp8 v[96:99], a[116:117], a[52:53], v[96:99]// 0000000037B8: D3F30060 1D826974
	v_mfma_f32_16x16x32_fp8_fp8 v[96:99], a[118:119], a[54:55], v[96:99]// 0000000037C0: D3F30060 1D826D76
	buffer_load_dword v67, s[20:23], 0 offen lds               // 0000000037C8: E0511000 80050043
	s_add_u32 m0, 0xc00, s48                                   // 0000000037D0: 807C30FF 00000C00
	buffer_load_dword v68, s[20:23], 0 offen lds               // 0000000037D8: E0511000 80050044
	s_add_u32 m0, 0xd00, s48                                   // 0000000037E0: 807C30FF 00000D00
	buffer_load_dword v69, s[20:23], 0 offen lds               // 0000000037E8: E0511000 80050045
	s_add_u32 m0, 0, s49                                       // 0000000037F0: 807C3180
	s_waitcnt vmcnt(14)                                        // 0000000037F4: BF8C0F7E
	v_mfma_f32_16x16x32_fp8_fp8 v[100:103], a[120:121], a[0:1], v[100:103]// 0000000037F8: D3F30064 1D920178
	v_mfma_f32_16x16x32_fp8_fp8 v[100:103], a[122:123], a[2:3], v[100:103]// 000000003800: D3F30064 1D92057A
	buffer_load_dwordx4 a[112:115], v70, s[24:27], 0 offen     // 000000003808: E05C1000 80867046
	v_mfma_f32_16x16x32_fp8_fp8 v[100:103], a[124:125], a[4:5], v[100:103]// 000000003810: D3F30064 1D92097C
	v_mfma_f32_16x16x32_fp8_fp8 v[100:103], a[126:127], a[6:7], v[100:103]// 000000003818: D3F30064 1D920D7E
	ds_read_b128 a[56:59], v2 offset:14464                     // 000000003820: DBFE3880 38000002
	ds_read_b128 a[60:63], v2 offset:14528                     // 000000003828: DBFE38C0 3C000002
	v_mfma_f32_16x16x32_fp8_fp8 v[104:107], a[120:121], a[8:9], v[104:107]// 000000003830: D3F30068 1DA21178
	v_mfma_f32_16x16x32_fp8_fp8 v[104:107], a[122:123], a[10:11], v[104:107]// 000000003838: D3F30068 1DA2157A
	buffer_load_dwordx4 a[116:119], v70, s[24:27], 0 offen offset:1024// 000000003840: E05C1400 80867446
	v_mfma_f32_16x16x32_fp8_fp8 v[104:107], a[124:125], a[12:13], v[104:107]// 000000003848: D3F30068 1DA2197C
	v_mfma_f32_16x16x32_fp8_fp8 v[104:107], a[126:127], a[14:15], v[104:107]// 000000003850: D3F30068 1DA21D7E
	ds_read_b128 a[64:67], v2 offset:14976                     // 000000003858: DBFE3A80 40000002
	ds_read_b128 a[68:71], v2 offset:15040                     // 000000003860: DBFE3AC0 44000002
	v_mfma_f32_16x16x32_fp8_fp8 v[108:111], a[120:121], a[16:17], v[108:111]// 000000003868: D3F3006C 1DB22178
	v_mfma_f32_16x16x32_fp8_fp8 v[108:111], a[122:123], a[18:19], v[108:111]// 000000003870: D3F3006C 1DB2257A
	v_mfma_f32_16x16x32_fp8_fp8 v[108:111], a[124:125], a[20:21], v[108:111]// 000000003878: D3F3006C 1DB2297C
	v_mfma_f32_16x16x32_fp8_fp8 v[108:111], a[126:127], a[22:23], v[108:111]// 000000003880: D3F3006C 1DB22D7E
	ds_read_b128 a[72:75], v2 offset:15488                     // 000000003888: DBFE3C80 48000002
	ds_read_b128 a[76:79], v2 offset:15552                     // 000000003890: DBFE3CC0 4C000002
	v_mfma_f32_16x16x32_fp8_fp8 v[112:115], a[120:121], a[24:25], v[112:115]// 000000003898: D3F30070 1DC23178
	v_mfma_f32_16x16x32_fp8_fp8 v[112:115], a[122:123], a[26:27], v[112:115]// 0000000038A0: D3F30070 1DC2357A
	v_mfma_f32_16x16x32_fp8_fp8 v[112:115], a[124:125], a[28:29], v[112:115]// 0000000038A8: D3F30070 1DC2397C
	v_mfma_f32_16x16x32_fp8_fp8 v[112:115], a[126:127], a[30:31], v[112:115]// 0000000038B0: D3F30070 1DC23D7E
	ds_read_b128 a[80:83], v2 offset:16000                     // 0000000038B8: DBFE3E80 50000002
	ds_read_b128 a[84:87], v2 offset:16064                     // 0000000038C0: DBFE3EC0 54000002
	v_mfma_f32_16x16x32_fp8_fp8 v[116:119], a[120:121], a[32:33], v[116:119]// 0000000038C8: D3F30074 1DD24178
	v_mfma_f32_16x16x32_fp8_fp8 v[116:119], a[122:123], a[34:35], v[116:119]// 0000000038D0: D3F30074 1DD2457A
	v_mfma_f32_16x16x32_fp8_fp8 v[116:119], a[124:125], a[36:37], v[116:119]// 0000000038D8: D3F30074 1DD2497C
	v_mfma_f32_16x16x32_fp8_fp8 v[116:119], a[126:127], a[38:39], v[116:119]// 0000000038E0: D3F30074 1DD24D7E
	ds_read_b128 a[88:91], v2 offset:16512                     // 0000000038E8: DBFE4080 58000002
	ds_read_b128 a[92:95], v2 offset:16576                     // 0000000038F0: DBFE40C0 5C000002
	v_mfma_f32_16x16x32_fp8_fp8 v[120:123], a[120:121], a[40:41], v[120:123]// 0000000038F8: D3F30078 1DE25178
	v_mfma_f32_16x16x32_fp8_fp8 v[120:123], a[122:123], a[42:43], v[120:123]// 000000003900: D3F30078 1DE2557A
	v_mfma_f32_16x16x32_fp8_fp8 v[120:123], a[124:125], a[44:45], v[120:123]// 000000003908: D3F30078 1DE2597C
	s_add_u32 s60, 0x180, s80                                  // 000000003910: 803C50FF 00000180
	s_cmp_lt_u32 s60, s81                                      // 000000003918: BF0A513C
	s_cselect_b32 s57, s57, 0                                  // 00000000391C: 85398039
	v_mfma_f32_16x16x32_fp8_fp8 v[120:123], a[126:127], a[46:47], v[120:123]// 000000003920: D3F30078 1DE25D7E
	ds_read_b128 a[96:99], v2 offset:17024                     // 000000003928: DBFE4280 60000002
	ds_read_b128 a[100:103], v2 offset:17088                   // 000000003930: DBFE42C0 64000002
	s_add_u32 s60, 0x100, s80                                  // 000000003938: 803C50FF 00000100
	s_cmp_lt_u32 s60, s81                                      // 000000003940: BF0A513C
	s_cselect_b32 s58, s58, 0                                  // 000000003944: 853A803A
	v_mfma_f32_16x16x32_fp8_fp8 v[124:127], a[120:121], a[48:49], v[124:127]// 000000003948: D3F3007C 1DF26178
	s_add_u32 s24, s58, s24                                    // 000000003950: 8018183A
	s_addc_u32 s25, 0, s25                                     // 000000003954: 82191980
	v_mfma_f32_16x16x32_fp8_fp8 v[124:127], a[122:123], a[50:51], v[124:127]// 000000003958: D3F3007C 1DF2657A
	s_add_u32 s20, s57, s20                                    // 000000003960: 80141439
	s_addc_u32 s21, 0, s21                                     // 000000003964: 82151580
	v_mfma_f32_16x16x32_fp8_fp8 v[124:127], a[124:125], a[52:53], v[124:127]// 000000003968: D3F3007C 1DF2697C
	s_add_u32 s84, s83, s84                                    // 000000003970: 80545453
	s_addc_u32 s85, 0, s85                                     // 000000003974: 82555580
	v_mfma_f32_16x16x32_fp8_fp8 v[124:127], a[126:127], a[54:55], v[124:127]// 000000003978: D3F3007C 1DF26D7E
	ds_read_b128 a[104:107], v2 offset:17536                   // 000000003980: DBFE4480 68000002
	ds_read_b128 a[108:111], v2 offset:17600                   // 000000003988: DBFE44C0 6C000002
	s_addk_i32 s80, 0x80                                       // 000000003990: B7500080
	s_cmp_lt_i32 s80, s81                                      // 000000003994: BF045150
	s_cbranch_scc0 label_04CB                                  // 000000003998: BF8400E4
	s_waitcnt vmcnt(0) lgkmcnt(0)                              // 00000000399C: BF8C0070
	s_barrier                                                  // 0000000039A0: BF8A0000
	v_mfma_f32_16x16x32_fp8_fp8 v[72:75], a[112:113], a[56:57], v[72:75]// 0000000039A4: D3F30048 1D227170
	v_mfma_f32_16x16x32_fp8_fp8 v[72:75], a[114:115], a[58:59], v[72:75]// 0000000039AC: D3F30048 1D227572
	buffer_load_dwordx4 a[120:123], v70, s[84:87], 0 offen     // 0000000039B4: E05C1000 80957846
	v_mfma_f32_16x16x32_fp8_fp8 v[72:75], a[116:117], a[60:61], v[72:75]// 0000000039BC: D3F30048 1D227974
	v_mfma_f32_16x16x32_fp8_fp8 v[72:75], a[118:119], a[62:63], v[72:75]// 0000000039C4: D3F30048 1D227D76
	v_mfma_f32_16x16x32_fp8_fp8 v[76:79], a[112:113], a[64:65], v[76:79]// 0000000039CC: D3F3004C 1D328170
	v_mfma_f32_16x16x32_fp8_fp8 v[76:79], a[114:115], a[66:67], v[76:79]// 0000000039D4: D3F3004C 1D328572
	buffer_load_dwordx4 a[124:127], v70, s[84:87], 0 offen offset:1024// 0000000039DC: E05C1400 80957C46
	buffer_load_dword v56, s[20:23], 0 offen lds               // 0000000039E4: E0511000 80050038
	s_add_u32 m0, 0x100, s49                                   // 0000000039EC: 807C31FF 00000100
	v_mfma_f32_16x16x32_fp8_fp8 v[76:79], a[116:117], a[68:69], v[76:79]// 0000000039F4: D3F3004C 1D328974
	v_mfma_f32_16x16x32_fp8_fp8 v[76:79], a[118:119], a[70:71], v[76:79]// 0000000039FC: D3F3004C 1D328D76
	buffer_load_dword v57, s[20:23], 0 offen lds               // 000000003A04: E0511000 80050039
	s_add_u32 m0, 0x200, s49                                   // 000000003A0C: 807C31FF 00000200
	v_mfma_f32_16x16x32_fp8_fp8 v[80:83], a[112:113], a[72:73], v[80:83]// 000000003A14: D3F30050 1D429170
	v_mfma_f32_16x16x32_fp8_fp8 v[80:83], a[114:115], a[74:75], v[80:83]// 000000003A1C: D3F30050 1D429572
	buffer_load_dword v58, s[20:23], 0 offen lds               // 000000003A24: E0511000 8005003A
	s_add_u32 m0, 0x300, s49                                   // 000000003A2C: 807C31FF 00000300
	v_mfma_f32_16x16x32_fp8_fp8 v[80:83], a[116:117], a[76:77], v[80:83]// 000000003A34: D3F30050 1D429974
	v_mfma_f32_16x16x32_fp8_fp8 v[80:83], a[118:119], a[78:79], v[80:83]// 000000003A3C: D3F30050 1D429D76
	buffer_load_dword v59, s[20:23], 0 offen lds               // 000000003A44: E0511000 8005003B
	s_add_u32 m0, 0x400, s49                                   // 000000003A4C: 807C31FF 00000400
	v_mfma_f32_16x16x32_fp8_fp8 v[84:87], a[112:113], a[80:81], v[84:87]// 000000003A54: D3F30054 1D52A170
	v_mfma_f32_16x16x32_fp8_fp8 v[84:87], a[114:115], a[82:83], v[84:87]// 000000003A5C: D3F30054 1D52A572
	buffer_load_dword v60, s[20:23], 0 offen lds               // 000000003A64: E0511000 8005003C
	s_add_u32 m0, 0x500, s49                                   // 000000003A6C: 807C31FF 00000500
	v_mfma_f32_16x16x32_fp8_fp8 v[84:87], a[116:117], a[84:85], v[84:87]// 000000003A74: D3F30054 1D52A974
	v_mfma_f32_16x16x32_fp8_fp8 v[84:87], a[118:119], a[86:87], v[84:87]// 000000003A7C: D3F30054 1D52AD76
	buffer_load_dword v61, s[20:23], 0 offen lds               // 000000003A84: E0511000 8005003D
	s_add_u32 m0, 0x600, s49                                   // 000000003A8C: 807C31FF 00000600
	v_mfma_f32_16x16x32_fp8_fp8 v[88:91], a[112:113], a[88:89], v[88:91]// 000000003A94: D3F30058 1D62B170
	v_mfma_f32_16x16x32_fp8_fp8 v[88:91], a[114:115], a[90:91], v[88:91]// 000000003A9C: D3F30058 1D62B572
	buffer_load_dword v62, s[20:23], 0 offen lds               // 000000003AA4: E0511000 8005003E
	s_add_u32 m0, 0x700, s49                                   // 000000003AAC: 807C31FF 00000700
	v_mfma_f32_16x16x32_fp8_fp8 v[88:91], a[116:117], a[92:93], v[88:91]// 000000003AB4: D3F30058 1D62B974
	v_mfma_f32_16x16x32_fp8_fp8 v[88:91], a[118:119], a[94:95], v[88:91]// 000000003ABC: D3F30058 1D62BD76
	buffer_load_dword v63, s[20:23], 0 offen lds               // 000000003AC4: E0511000 8005003F
	s_add_u32 m0, 0x800, s49                                   // 000000003ACC: 807C31FF 00000800
	v_mfma_f32_16x16x32_fp8_fp8 v[92:95], a[112:113], a[96:97], v[92:95]// 000000003AD4: D3F3005C 1D72C170
	v_mfma_f32_16x16x32_fp8_fp8 v[92:95], a[114:115], a[98:99], v[92:95]// 000000003ADC: D3F3005C 1D72C572
	buffer_load_dword v64, s[20:23], 0 offen lds               // 000000003AE4: E0511000 80050040
	s_add_u32 m0, 0x900, s49                                   // 000000003AEC: 807C31FF 00000900
	v_mfma_f32_16x16x32_fp8_fp8 v[92:95], a[116:117], a[100:101], v[92:95]// 000000003AF4: D3F3005C 1D72C974
	v_mfma_f32_16x16x32_fp8_fp8 v[92:95], a[118:119], a[102:103], v[92:95]// 000000003AFC: D3F3005C 1D72CD76
	buffer_load_dword v65, s[20:23], 0 offen lds               // 000000003B04: E0511000 80050041
	s_add_u32 m0, 0xa00, s49                                   // 000000003B0C: 807C31FF 00000A00
	v_mfma_f32_16x16x32_fp8_fp8 v[96:99], a[112:113], a[104:105], v[96:99]// 000000003B14: D3F30060 1D82D170
	v_mfma_f32_16x16x32_fp8_fp8 v[96:99], a[114:115], a[106:107], v[96:99]// 000000003B1C: D3F30060 1D82D572
	buffer_load_dword v66, s[20:23], 0 offen lds               // 000000003B24: E0511000 80050042
	s_add_u32 m0, 0xb00, s49                                   // 000000003B2C: 807C31FF 00000B00
	s_add_u32 s60, 0x80, s80                                   // 000000003B34: 803C50FF 00000080
	s_cmp_lt_u32 s60, s81                                      // 000000003B3C: BF0A513C
	s_cselect_b32 s83, s83, 0                                  // 000000003B40: 85538053
	v_mfma_f32_16x16x32_fp8_fp8 v[96:99], a[116:117], a[108:109], v[96:99]// 000000003B44: D3F30060 1D82D974
	v_mfma_f32_16x16x32_fp8_fp8 v[96:99], a[118:119], a[110:111], v[96:99]// 000000003B4C: D3F30060 1D82DD76
	buffer_load_dword v67, s[20:23], 0 offen lds               // 000000003B54: E0511000 80050043
	s_add_u32 m0, 0xc00, s49                                   // 000000003B5C: 807C31FF 00000C00
	buffer_load_dword v68, s[20:23], 0 offen lds               // 000000003B64: E0511000 80050044
	s_add_u32 m0, 0xd00, s49                                   // 000000003B6C: 807C31FF 00000D00
	buffer_load_dword v69, s[20:23], 0 offen lds               // 000000003B74: E0511000 80050045
	s_add_u32 m0, 0, s48                                       // 000000003B7C: 807C3080
	s_waitcnt vmcnt(14)                                        // 000000003B80: BF8C0F7E
	v_mfma_f32_16x16x32_fp8_fp8 v[100:103], a[120:121], a[56:57], v[100:103]// 000000003B84: D3F30064 1D927178
	v_mfma_f32_16x16x32_fp8_fp8 v[100:103], a[122:123], a[58:59], v[100:103]// 000000003B8C: D3F30064 1D92757A
	buffer_load_dwordx4 a[112:115], v70, s[24:27], 0 offen     // 000000003B94: E05C1000 80867046
	v_mfma_f32_16x16x32_fp8_fp8 v[100:103], a[124:125], a[60:61], v[100:103]// 000000003B9C: D3F30064 1D92797C
	v_mfma_f32_16x16x32_fp8_fp8 v[100:103], a[126:127], a[62:63], v[100:103]// 000000003BA4: D3F30064 1D927D7E
	ds_read_b128 a[0:3], v2                                    // 000000003BAC: DBFE0000 00000002
	ds_read_b128 a[4:7], v2 offset:64                          // 000000003BB4: DBFE0040 04000002
	v_mfma_f32_16x16x32_fp8_fp8 v[104:107], a[120:121], a[64:65], v[104:107]// 000000003BBC: D3F30068 1DA28178
	v_mfma_f32_16x16x32_fp8_fp8 v[104:107], a[122:123], a[66:67], v[104:107]// 000000003BC4: D3F30068 1DA2857A
	buffer_load_dwordx4 a[116:119], v70, s[24:27], 0 offen offset:1024// 000000003BCC: E05C1400 80867446
	v_mfma_f32_16x16x32_fp8_fp8 v[104:107], a[124:125], a[68:69], v[104:107]// 000000003BD4: D3F30068 1DA2897C
	v_mfma_f32_16x16x32_fp8_fp8 v[104:107], a[126:127], a[70:71], v[104:107]// 000000003BDC: D3F30068 1DA28D7E
	ds_read_b128 a[8:11], v2 offset:512                        // 000000003BE4: DBFE0200 08000002
	ds_read_b128 a[12:15], v2 offset:576                       // 000000003BEC: DBFE0240 0C000002
	v_mfma_f32_16x16x32_fp8_fp8 v[108:111], a[120:121], a[72:73], v[108:111]// 000000003BF4: D3F3006C 1DB29178
	v_mfma_f32_16x16x32_fp8_fp8 v[108:111], a[122:123], a[74:75], v[108:111]// 000000003BFC: D3F3006C 1DB2957A
	v_mfma_f32_16x16x32_fp8_fp8 v[108:111], a[124:125], a[76:77], v[108:111]// 000000003C04: D3F3006C 1DB2997C
	v_mfma_f32_16x16x32_fp8_fp8 v[108:111], a[126:127], a[78:79], v[108:111]// 000000003C0C: D3F3006C 1DB29D7E
	ds_read_b128 a[16:19], v2 offset:1024                      // 000000003C14: DBFE0400 10000002
	ds_read_b128 a[20:23], v2 offset:1088                      // 000000003C1C: DBFE0440 14000002
	v_mfma_f32_16x16x32_fp8_fp8 v[112:115], a[120:121], a[80:81], v[112:115]// 000000003C24: D3F30070 1DC2A178
	v_mfma_f32_16x16x32_fp8_fp8 v[112:115], a[122:123], a[82:83], v[112:115]// 000000003C2C: D3F30070 1DC2A57A
	v_mfma_f32_16x16x32_fp8_fp8 v[112:115], a[124:125], a[84:85], v[112:115]// 000000003C34: D3F30070 1DC2A97C
	v_mfma_f32_16x16x32_fp8_fp8 v[112:115], a[126:127], a[86:87], v[112:115]// 000000003C3C: D3F30070 1DC2AD7E
	ds_read_b128 a[24:27], v2 offset:1536                      // 000000003C44: DBFE0600 18000002
	ds_read_b128 a[28:31], v2 offset:1600                      // 000000003C4C: DBFE0640 1C000002
	v_mfma_f32_16x16x32_fp8_fp8 v[116:119], a[120:121], a[88:89], v[116:119]// 000000003C54: D3F30074 1DD2B178
	v_mfma_f32_16x16x32_fp8_fp8 v[116:119], a[122:123], a[90:91], v[116:119]// 000000003C5C: D3F30074 1DD2B57A
	v_mfma_f32_16x16x32_fp8_fp8 v[116:119], a[124:125], a[92:93], v[116:119]// 000000003C64: D3F30074 1DD2B97C
	v_mfma_f32_16x16x32_fp8_fp8 v[116:119], a[126:127], a[94:95], v[116:119]// 000000003C6C: D3F30074 1DD2BD7E
	ds_read_b128 a[32:35], v2 offset:2048                      // 000000003C74: DBFE0800 20000002
	ds_read_b128 a[36:39], v2 offset:2112                      // 000000003C7C: DBFE0840 24000002
	v_mfma_f32_16x16x32_fp8_fp8 v[120:123], a[120:121], a[96:97], v[120:123]// 000000003C84: D3F30078 1DE2C178
	v_mfma_f32_16x16x32_fp8_fp8 v[120:123], a[122:123], a[98:99], v[120:123]// 000000003C8C: D3F30078 1DE2C57A
	v_mfma_f32_16x16x32_fp8_fp8 v[120:123], a[124:125], a[100:101], v[120:123]// 000000003C94: D3F30078 1DE2C97C
	s_add_u32 s60, 0x180, s80                                  // 000000003C9C: 803C50FF 00000180
	s_cmp_lt_u32 s60, s81                                      // 000000003CA4: BF0A513C
	s_cselect_b32 s57, s57, 0                                  // 000000003CA8: 85398039
	v_mfma_f32_16x16x32_fp8_fp8 v[120:123], a[126:127], a[102:103], v[120:123]// 000000003CAC: D3F30078 1DE2CD7E
	ds_read_b128 a[40:43], v2 offset:2560                      // 000000003CB4: DBFE0A00 28000002
	ds_read_b128 a[44:47], v2 offset:2624                      // 000000003CBC: DBFE0A40 2C000002
	s_add_u32 s60, 0x100, s80                                  // 000000003CC4: 803C50FF 00000100
	s_cmp_lt_u32 s60, s81                                      // 000000003CCC: BF0A513C
	s_cselect_b32 s58, s58, 0                                  // 000000003CD0: 853A803A
	v_mfma_f32_16x16x32_fp8_fp8 v[124:127], a[120:121], a[104:105], v[124:127]// 000000003CD4: D3F3007C 1DF2D178
	s_add_u32 s24, s58, s24                                    // 000000003CDC: 8018183A
	s_addc_u32 s25, 0, s25                                     // 000000003CE0: 82191980
	v_mfma_f32_16x16x32_fp8_fp8 v[124:127], a[122:123], a[106:107], v[124:127]// 000000003CE4: D3F3007C 1DF2D57A
	s_add_u32 s20, s57, s20                                    // 000000003CEC: 80141439
	s_addc_u32 s21, 0, s21                                     // 000000003CF0: 82151580
	v_mfma_f32_16x16x32_fp8_fp8 v[124:127], a[124:125], a[108:109], v[124:127]// 000000003CF4: D3F3007C 1DF2D97C
	s_add_u32 s84, s83, s84                                    // 000000003CFC: 80545453
	s_addc_u32 s85, 0, s85                                     // 000000003D00: 82555580
	v_mfma_f32_16x16x32_fp8_fp8 v[124:127], a[126:127], a[110:111], v[124:127]// 000000003D04: D3F3007C 1DF2DD7E
	ds_read_b128 a[48:51], v2 offset:3072                      // 000000003D0C: DBFE0C00 30000002
	ds_read_b128 a[52:55], v2 offset:3136                      // 000000003D14: DBFE0C40 34000002
	s_addk_i32 s80, 0x80                                       // 000000003D1C: B7500080
	s_cmp_lt_i32 s80, s81                                      // 000000003D20: BF045150
	s_cbranch_scc0 label_04CB                                  // 000000003D24: BF840001
	s_branch label_0304                                        // 000000003D28: BF82FE39

0000000000003d2c <label_04CB>:
	v_mul_f32_dpp v72, v24, v72 row_newbcast:0 row_mask:0xf bank_mask:0xf// 000000003D2C: 0A9090FA FF015018
	v_mul_f32_dpp v73, v24, v73 row_newbcast:1 row_mask:0xf bank_mask:0xf// 000000003D34: 0A9292FA FF015118
	v_mul_f32_dpp v74, v24, v74 row_newbcast:2 row_mask:0xf bank_mask:0xf// 000000003D3C: 0A9494FA FF015218
	v_mul_f32_dpp v75, v24, v75 row_newbcast:3 row_mask:0xf bank_mask:0xf// 000000003D44: 0A9696FA FF015318
	v_mul_f32_dpp v76, v24, v76 row_newbcast:0 row_mask:0xf bank_mask:0xf// 000000003D4C: 0A9898FA FF015018
	v_mul_f32_dpp v77, v24, v77 row_newbcast:1 row_mask:0xf bank_mask:0xf// 000000003D54: 0A9A9AFA FF015118
	v_mul_f32_dpp v78, v24, v78 row_newbcast:2 row_mask:0xf bank_mask:0xf// 000000003D5C: 0A9C9CFA FF015218
	v_mul_f32_dpp v79, v24, v79 row_newbcast:3 row_mask:0xf bank_mask:0xf// 000000003D64: 0A9E9EFA FF015318
	v_mul_f32_dpp v80, v24, v80 row_newbcast:0 row_mask:0xf bank_mask:0xf// 000000003D6C: 0AA0A0FA FF015018
	v_mul_f32_dpp v81, v24, v81 row_newbcast:1 row_mask:0xf bank_mask:0xf// 000000003D74: 0AA2A2FA FF015118
	v_mul_f32_dpp v82, v24, v82 row_newbcast:2 row_mask:0xf bank_mask:0xf// 000000003D7C: 0AA4A4FA FF015218
	v_mul_f32_dpp v83, v24, v83 row_newbcast:3 row_mask:0xf bank_mask:0xf// 000000003D84: 0AA6A6FA FF015318
	v_mul_f32_dpp v84, v24, v84 row_newbcast:0 row_mask:0xf bank_mask:0xf// 000000003D8C: 0AA8A8FA FF015018
	v_mul_f32_dpp v85, v24, v85 row_newbcast:1 row_mask:0xf bank_mask:0xf// 000000003D94: 0AAAAAFA FF015118
	v_mul_f32_dpp v86, v24, v86 row_newbcast:2 row_mask:0xf bank_mask:0xf// 000000003D9C: 0AACACFA FF015218
	v_mul_f32_dpp v87, v24, v87 row_newbcast:3 row_mask:0xf bank_mask:0xf// 000000003DA4: 0AAEAEFA FF015318
	v_mul_f32_dpp v88, v24, v88 row_newbcast:0 row_mask:0xf bank_mask:0xf// 000000003DAC: 0AB0B0FA FF015018
	v_mul_f32_dpp v89, v24, v89 row_newbcast:1 row_mask:0xf bank_mask:0xf// 000000003DB4: 0AB2B2FA FF015118
	v_mul_f32_dpp v90, v24, v90 row_newbcast:2 row_mask:0xf bank_mask:0xf// 000000003DBC: 0AB4B4FA FF015218
	v_mul_f32_dpp v91, v24, v91 row_newbcast:3 row_mask:0xf bank_mask:0xf// 000000003DC4: 0AB6B6FA FF015318
	v_mul_f32_dpp v92, v24, v92 row_newbcast:0 row_mask:0xf bank_mask:0xf// 000000003DCC: 0AB8B8FA FF015018
	v_mul_f32_dpp v93, v24, v93 row_newbcast:1 row_mask:0xf bank_mask:0xf// 000000003DD4: 0ABABAFA FF015118
	v_mul_f32_dpp v94, v24, v94 row_newbcast:2 row_mask:0xf bank_mask:0xf// 000000003DDC: 0ABCBCFA FF015218
	v_mul_f32_dpp v95, v24, v95 row_newbcast:3 row_mask:0xf bank_mask:0xf// 000000003DE4: 0ABEBEFA FF015318
	v_mul_f32_dpp v96, v24, v96 row_newbcast:0 row_mask:0xf bank_mask:0xf// 000000003DEC: 0AC0C0FA FF015018
	v_mul_f32_dpp v97, v24, v97 row_newbcast:1 row_mask:0xf bank_mask:0xf// 000000003DF4: 0AC2C2FA FF015118
	v_mul_f32_dpp v98, v24, v98 row_newbcast:2 row_mask:0xf bank_mask:0xf// 000000003DFC: 0AC4C4FA FF015218
	v_mul_f32_dpp v99, v24, v99 row_newbcast:3 row_mask:0xf bank_mask:0xf// 000000003E04: 0AC6C6FA FF015318
	v_mul_f32_dpp v100, v26, v100 row_newbcast:0 row_mask:0xf bank_mask:0xf// 000000003E0C: 0AC8C8FA FF01501A
	v_mul_f32_dpp v101, v26, v101 row_newbcast:1 row_mask:0xf bank_mask:0xf// 000000003E14: 0ACACAFA FF01511A
	v_mul_f32_dpp v102, v26, v102 row_newbcast:2 row_mask:0xf bank_mask:0xf// 000000003E1C: 0ACCCCFA FF01521A
	v_mul_f32_dpp v103, v26, v103 row_newbcast:3 row_mask:0xf bank_mask:0xf// 000000003E24: 0ACECEFA FF01531A
	v_mul_f32_dpp v104, v26, v104 row_newbcast:0 row_mask:0xf bank_mask:0xf// 000000003E2C: 0AD0D0FA FF01501A
	v_mul_f32_dpp v105, v26, v105 row_newbcast:1 row_mask:0xf bank_mask:0xf// 000000003E34: 0AD2D2FA FF01511A
	v_mul_f32_dpp v106, v26, v106 row_newbcast:2 row_mask:0xf bank_mask:0xf// 000000003E3C: 0AD4D4FA FF01521A
	v_mul_f32_dpp v107, v26, v107 row_newbcast:3 row_mask:0xf bank_mask:0xf// 000000003E44: 0AD6D6FA FF01531A
	v_mul_f32_dpp v108, v26, v108 row_newbcast:0 row_mask:0xf bank_mask:0xf// 000000003E4C: 0AD8D8FA FF01501A
	v_mul_f32_dpp v109, v26, v109 row_newbcast:1 row_mask:0xf bank_mask:0xf// 000000003E54: 0ADADAFA FF01511A
	v_mul_f32_dpp v110, v26, v110 row_newbcast:2 row_mask:0xf bank_mask:0xf// 000000003E5C: 0ADCDCFA FF01521A
	v_mul_f32_dpp v111, v26, v111 row_newbcast:3 row_mask:0xf bank_mask:0xf// 000000003E64: 0ADEDEFA FF01531A
	v_mul_f32_dpp v112, v26, v112 row_newbcast:0 row_mask:0xf bank_mask:0xf// 000000003E6C: 0AE0E0FA FF01501A
	v_mul_f32_dpp v113, v26, v113 row_newbcast:1 row_mask:0xf bank_mask:0xf// 000000003E74: 0AE2E2FA FF01511A
	v_mul_f32_dpp v114, v26, v114 row_newbcast:2 row_mask:0xf bank_mask:0xf// 000000003E7C: 0AE4E4FA FF01521A
	v_mul_f32_dpp v115, v26, v115 row_newbcast:3 row_mask:0xf bank_mask:0xf// 000000003E84: 0AE6E6FA FF01531A
	v_mul_f32_dpp v116, v26, v116 row_newbcast:0 row_mask:0xf bank_mask:0xf// 000000003E8C: 0AE8E8FA FF01501A
	v_mul_f32_dpp v117, v26, v117 row_newbcast:1 row_mask:0xf bank_mask:0xf// 000000003E94: 0AEAEAFA FF01511A
	v_mul_f32_dpp v118, v26, v118 row_newbcast:2 row_mask:0xf bank_mask:0xf// 000000003E9C: 0AECECFA FF01521A
	v_mul_f32_dpp v119, v26, v119 row_newbcast:3 row_mask:0xf bank_mask:0xf// 000000003EA4: 0AEEEEFA FF01531A
	v_mul_f32_dpp v120, v26, v120 row_newbcast:0 row_mask:0xf bank_mask:0xf// 000000003EAC: 0AF0F0FA FF01501A
	v_mul_f32_dpp v121, v26, v121 row_newbcast:1 row_mask:0xf bank_mask:0xf// 000000003EB4: 0AF2F2FA FF01511A
	v_mul_f32_dpp v122, v26, v122 row_newbcast:2 row_mask:0xf bank_mask:0xf// 000000003EBC: 0AF4F4FA FF01521A
	v_mul_f32_dpp v123, v26, v123 row_newbcast:3 row_mask:0xf bank_mask:0xf// 000000003EC4: 0AF6F6FA FF01531A
	v_mul_f32_dpp v124, v26, v124 row_newbcast:0 row_mask:0xf bank_mask:0xf// 000000003ECC: 0AF8F8FA FF01501A
	v_mul_f32_dpp v125, v26, v125 row_newbcast:1 row_mask:0xf bank_mask:0xf// 000000003ED4: 0AFAFAFA FF01511A
	v_mul_f32_dpp v126, v26, v126 row_newbcast:2 row_mask:0xf bank_mask:0xf// 000000003EDC: 0AFCFCFA FF01521A
	v_mul_f32_dpp v127, v26, v127 row_newbcast:3 row_mask:0xf bank_mask:0xf// 000000003EE4: 0AFEFEFA FF01531A
	v_mov_b32_e32 v4, v35                                      // 000000003EEC: 7E080323
	v_mov_b32_e32 v5, v4                                       // 000000003EF0: 7E0A0304
	v_pk_mul_f32 v[72:73], v[4:5], v[72:73]                    // 000000003EF4: D3B14048 18029104
	v_pk_mul_f32 v[100:101], v[4:5], v[100:101]                // 000000003EFC: D3B14064 1802C904
	v_pk_mul_f32 v[74:75], v[4:5], v[74:75]                    // 000000003F04: D3B1404A 18029504
	v_pk_mul_f32 v[102:103], v[4:5], v[102:103]                // 000000003F0C: D3B14066 1802CD04
	v_mov_b32_e32 v4, v36                                      // 000000003F14: 7E080324
	v_mov_b32_e32 v5, v4                                       // 000000003F18: 7E0A0304
	v_pk_mul_f32 v[76:77], v[4:5], v[76:77]                    // 000000003F1C: D3B1404C 18029904
	v_pk_mul_f32 v[104:105], v[4:5], v[104:105]                // 000000003F24: D3B14068 1802D104
	v_pk_mul_f32 v[78:79], v[4:5], v[78:79]                    // 000000003F2C: D3B1404E 18029D04
	v_pk_mul_f32 v[106:107], v[4:5], v[106:107]                // 000000003F34: D3B1406A 1802D504
	v_mov_b32_e32 v4, v37                                      // 000000003F3C: 7E080325
	v_mov_b32_e32 v5, v4                                       // 000000003F40: 7E0A0304
	v_pk_mul_f32 v[80:81], v[4:5], v[80:81]                    // 000000003F44: D3B14050 1802A104
	v_pk_mul_f32 v[108:109], v[4:5], v[108:109]                // 000000003F4C: D3B1406C 1802D904
	v_pk_mul_f32 v[82:83], v[4:5], v[82:83]                    // 000000003F54: D3B14052 1802A504
	v_pk_mul_f32 v[110:111], v[4:5], v[110:111]                // 000000003F5C: D3B1406E 1802DD04
	v_mov_b32_e32 v4, v38                                      // 000000003F64: 7E080326
	v_mov_b32_e32 v5, v4                                       // 000000003F68: 7E0A0304
	v_pk_mul_f32 v[84:85], v[4:5], v[84:85]                    // 000000003F6C: D3B14054 1802A904
	v_pk_mul_f32 v[112:113], v[4:5], v[112:113]                // 000000003F74: D3B14070 1802E104
	v_pk_mul_f32 v[86:87], v[4:5], v[86:87]                    // 000000003F7C: D3B14056 1802AD04
	v_pk_mul_f32 v[114:115], v[4:5], v[114:115]                // 000000003F84: D3B14072 1802E504
	v_mov_b32_e32 v4, v39                                      // 000000003F8C: 7E080327
	v_mov_b32_e32 v5, v4                                       // 000000003F90: 7E0A0304
	v_pk_mul_f32 v[88:89], v[4:5], v[88:89]                    // 000000003F94: D3B14058 1802B104
	v_pk_mul_f32 v[116:117], v[4:5], v[116:117]                // 000000003F9C: D3B14074 1802E904
	v_pk_mul_f32 v[90:91], v[4:5], v[90:91]                    // 000000003FA4: D3B1405A 1802B504
	v_pk_mul_f32 v[118:119], v[4:5], v[118:119]                // 000000003FAC: D3B14076 1802ED04
	v_mov_b32_e32 v4, v40                                      // 000000003FB4: 7E080328
	v_mov_b32_e32 v5, v4                                       // 000000003FB8: 7E0A0304
	v_pk_mul_f32 v[92:93], v[4:5], v[92:93]                    // 000000003FBC: D3B1405C 1802B904
	v_pk_mul_f32 v[120:121], v[4:5], v[120:121]                // 000000003FC4: D3B14078 1802F104
	v_pk_mul_f32 v[94:95], v[4:5], v[94:95]                    // 000000003FCC: D3B1405E 1802BD04
	v_pk_mul_f32 v[122:123], v[4:5], v[122:123]                // 000000003FD4: D3B1407A 1802F504
	v_mov_b32_e32 v4, v41                                      // 000000003FDC: 7E080329
	v_mov_b32_e32 v5, v4                                       // 000000003FE0: 7E0A0304
	v_pk_mul_f32 v[96:97], v[4:5], v[96:97]                    // 000000003FE4: D3B14060 1802C104
	v_pk_mul_f32 v[124:125], v[4:5], v[124:125]                // 000000003FEC: D3B1407C 1802F904
	v_pk_mul_f32 v[98:99], v[4:5], v[98:99]                    // 000000003FF4: D3B14062 1802C504
	v_pk_mul_f32 v[126:127], v[4:5], v[126:127]                // 000000003FFC: D3B1407E 1802FD04
	s_cmp_eq_u32 s88, 0                                        // 000000004004: BF068058
	s_cbranch_scc0 label_0ABA                                  // 000000004008: BF840537
	s_cmp_eq_u32 s89, 0                                        // 00000000400C: BF068059
	s_cbranch_scc1 label_06A2                                  // 000000004010: BF85011D
	v_mov_b32_e32 v8, v1                                       // 000000004014: 7E100301
	v_mov_b32_e32 v9, v1                                       // 000000004018: 7E120301
	s_mov_b32 s60, s6                                          // 00000000401C: BEBC0006
	s_mov_b32 s61, s6                                          // 000000004020: BEBD0006
	v_pk_mul_f32 v[4:5], v[72:73], v[72:73]                    // 000000004024: D3B14004 18029148
	v_pk_mul_f32 v[6:7], v[74:75], v[74:75]                    // 00000000402C: D3B14006 1802954A
	v_pk_fma_f32 v[4:5], v[4:5], s[78:79], v[8:9]              // 000000004034: D3B04004 1C209D04
	v_pk_fma_f32 v[6:7], v[6:7], s[78:79], v[8:9]              // 00000000403C: D3B04006 1C209D06
	v_pk_mul_f32 v[4:5], v[4:5], v[72:73]                      // 000000004044: D3B14004 18029104
	v_pk_mul_f32 v[6:7], v[6:7], v[74:75]                      // 00000000404C: D3B14006 18029506
	v_pk_mul_f32 v[4:5], v[4:5], s[60:61]                      // 000000004054: D3B14004 18007904
	v_pk_mul_f32 v[6:7], v[6:7], s[60:61]                      // 00000000405C: D3B14006 18007906
	v_exp_f32_e32 v4, v4                                       // 000000004064: 7E084104
	v_exp_f32_e32 v5, v5                                       // 000000004068: 7E0A4105
	v_exp_f32_e32 v6, v6                                       // 00000000406C: 7E0C4106
	v_exp_f32_e32 v7, v7                                       // 000000004070: 7E0E4107
	v_add_f32_e64 v4, v4, 1.0                                  // 000000004074: D1010004 0001E504
	v_add_f32_e64 v5, v5, 1.0                                  // 00000000407C: D1010005 0001E505
	v_add_f32_e64 v6, v6, 1.0                                  // 000000004084: D1010006 0001E506
	v_add_f32_e64 v7, v7, 1.0                                  // 00000000408C: D1010007 0001E507
	v_rcp_f32_e32 v4, v4                                       // 000000004094: 7E084504
	v_rcp_f32_e32 v5, v5                                       // 000000004098: 7E0A4505
	v_rcp_f32_e32 v6, v6                                       // 00000000409C: 7E0C4506
	v_rcp_f32_e32 v7, v7                                       // 0000000040A0: 7E0E4507
	v_mul_f32_e32 v72, v72, v4                                 // 0000000040A4: 0A900948
	v_mul_f32_e32 v73, v73, v5                                 // 0000000040A8: 0A920B49
	v_mul_f32_e32 v74, v74, v6                                 // 0000000040AC: 0A940D4A
	v_mul_f32_e32 v75, v75, v7                                 // 0000000040B0: 0A960F4B
	v_mul_f32_e32 v72, v72, v100                               // 0000000040B4: 0A90C948
	v_mul_f32_e32 v73, v73, v101                               // 0000000040B8: 0A92CB49
	v_mul_f32_e32 v74, v74, v102                               // 0000000040BC: 0A94CD4A
	v_mul_f32_e32 v75, v75, v103                               // 0000000040C0: 0A96CF4B
	v_pk_mul_f32 v[4:5], v[76:77], v[76:77]                    // 0000000040C4: D3B14004 1802994C
	v_pk_mul_f32 v[6:7], v[78:79], v[78:79]                    // 0000000040CC: D3B14006 18029D4E
	v_pk_fma_f32 v[4:5], v[4:5], s[78:79], v[8:9]              // 0000000040D4: D3B04004 1C209D04
	v_pk_fma_f32 v[6:7], v[6:7], s[78:79], v[8:9]              // 0000000040DC: D3B04006 1C209D06
	v_pk_mul_f32 v[4:5], v[4:5], v[76:77]                      // 0000000040E4: D3B14004 18029904
	v_pk_mul_f32 v[6:7], v[6:7], v[78:79]                      // 0000000040EC: D3B14006 18029D06
	v_pk_mul_f32 v[4:5], v[4:5], s[60:61]                      // 0000000040F4: D3B14004 18007904
	v_pk_mul_f32 v[6:7], v[6:7], s[60:61]                      // 0000000040FC: D3B14006 18007906
	v_exp_f32_e32 v4, v4                                       // 000000004104: 7E084104
	v_exp_f32_e32 v5, v5                                       // 000000004108: 7E0A4105
	v_exp_f32_e32 v6, v6                                       // 00000000410C: 7E0C4106
	v_exp_f32_e32 v7, v7                                       // 000000004110: 7E0E4107
	v_add_f32_e64 v4, v4, 1.0                                  // 000000004114: D1010004 0001E504
	v_add_f32_e64 v5, v5, 1.0                                  // 00000000411C: D1010005 0001E505
	v_add_f32_e64 v6, v6, 1.0                                  // 000000004124: D1010006 0001E506
	v_add_f32_e64 v7, v7, 1.0                                  // 00000000412C: D1010007 0001E507
	v_rcp_f32_e32 v4, v4                                       // 000000004134: 7E084504
	v_rcp_f32_e32 v5, v5                                       // 000000004138: 7E0A4505
	v_rcp_f32_e32 v6, v6                                       // 00000000413C: 7E0C4506
	v_rcp_f32_e32 v7, v7                                       // 000000004140: 7E0E4507
	v_mul_f32_e32 v76, v76, v4                                 // 000000004144: 0A98094C
	v_mul_f32_e32 v77, v77, v5                                 // 000000004148: 0A9A0B4D
	v_mul_f32_e32 v78, v78, v6                                 // 00000000414C: 0A9C0D4E
	v_mul_f32_e32 v79, v79, v7                                 // 000000004150: 0A9E0F4F
	v_mul_f32_e32 v76, v76, v104                               // 000000004154: 0A98D14C
	v_mul_f32_e32 v77, v77, v105                               // 000000004158: 0A9AD34D
	v_mul_f32_e32 v78, v78, v106                               // 00000000415C: 0A9CD54E
	v_mul_f32_e32 v79, v79, v107                               // 000000004160: 0A9ED74F
	v_pk_mul_f32 v[4:5], v[80:81], v[80:81]                    // 000000004164: D3B14004 1802A150
	v_pk_mul_f32 v[6:7], v[82:83], v[82:83]                    // 00000000416C: D3B14006 1802A552
	v_pk_fma_f32 v[4:5], v[4:5], s[78:79], v[8:9]              // 000000004174: D3B04004 1C209D04
	v_pk_fma_f32 v[6:7], v[6:7], s[78:79], v[8:9]              // 00000000417C: D3B04006 1C209D06
	v_pk_mul_f32 v[4:5], v[4:5], v[80:81]                      // 000000004184: D3B14004 1802A104
	v_pk_mul_f32 v[6:7], v[6:7], v[82:83]                      // 00000000418C: D3B14006 1802A506
	v_pk_mul_f32 v[4:5], v[4:5], s[60:61]                      // 000000004194: D3B14004 18007904
	v_pk_mul_f32 v[6:7], v[6:7], s[60:61]                      // 00000000419C: D3B14006 18007906
	v_exp_f32_e32 v4, v4                                       // 0000000041A4: 7E084104
	v_exp_f32_e32 v5, v5                                       // 0000000041A8: 7E0A4105
	v_exp_f32_e32 v6, v6                                       // 0000000041AC: 7E0C4106
	v_exp_f32_e32 v7, v7                                       // 0000000041B0: 7E0E4107
	v_add_f32_e64 v4, v4, 1.0                                  // 0000000041B4: D1010004 0001E504
	v_add_f32_e64 v5, v5, 1.0                                  // 0000000041BC: D1010005 0001E505
	v_add_f32_e64 v6, v6, 1.0                                  // 0000000041C4: D1010006 0001E506
	v_add_f32_e64 v7, v7, 1.0                                  // 0000000041CC: D1010007 0001E507
	v_rcp_f32_e32 v4, v4                                       // 0000000041D4: 7E084504
	v_rcp_f32_e32 v5, v5                                       // 0000000041D8: 7E0A4505
	v_rcp_f32_e32 v6, v6                                       // 0000000041DC: 7E0C4506
	v_rcp_f32_e32 v7, v7                                       // 0000000041E0: 7E0E4507
	v_mul_f32_e32 v80, v80, v4                                 // 0000000041E4: 0AA00950
	v_mul_f32_e32 v81, v81, v5                                 // 0000000041E8: 0AA20B51
	v_mul_f32_e32 v82, v82, v6                                 // 0000000041EC: 0AA40D52
	v_mul_f32_e32 v83, v83, v7                                 // 0000000041F0: 0AA60F53
	v_mul_f32_e32 v80, v80, v108                               // 0000000041F4: 0AA0D950
	v_mul_f32_e32 v81, v81, v109                               // 0000000041F8: 0AA2DB51
	v_mul_f32_e32 v82, v82, v110                               // 0000000041FC: 0AA4DD52
	v_mul_f32_e32 v83, v83, v111                               // 000000004200: 0AA6DF53
	v_pk_mul_f32 v[4:5], v[84:85], v[84:85]                    // 000000004204: D3B14004 1802A954
	v_pk_mul_f32 v[6:7], v[86:87], v[86:87]                    // 00000000420C: D3B14006 1802AD56
	v_pk_fma_f32 v[4:5], v[4:5], s[78:79], v[8:9]              // 000000004214: D3B04004 1C209D04
	v_pk_fma_f32 v[6:7], v[6:7], s[78:79], v[8:9]              // 00000000421C: D3B04006 1C209D06
	v_pk_mul_f32 v[4:5], v[4:5], v[84:85]                      // 000000004224: D3B14004 1802A904
	v_pk_mul_f32 v[6:7], v[6:7], v[86:87]                      // 00000000422C: D3B14006 1802AD06
	v_pk_mul_f32 v[4:5], v[4:5], s[60:61]                      // 000000004234: D3B14004 18007904
	v_pk_mul_f32 v[6:7], v[6:7], s[60:61]                      // 00000000423C: D3B14006 18007906
	v_exp_f32_e32 v4, v4                                       // 000000004244: 7E084104
	v_exp_f32_e32 v5, v5                                       // 000000004248: 7E0A4105
	v_exp_f32_e32 v6, v6                                       // 00000000424C: 7E0C4106
	v_exp_f32_e32 v7, v7                                       // 000000004250: 7E0E4107
	v_add_f32_e64 v4, v4, 1.0                                  // 000000004254: D1010004 0001E504
	v_add_f32_e64 v5, v5, 1.0                                  // 00000000425C: D1010005 0001E505
	v_add_f32_e64 v6, v6, 1.0                                  // 000000004264: D1010006 0001E506
	v_add_f32_e64 v7, v7, 1.0                                  // 00000000426C: D1010007 0001E507
	v_rcp_f32_e32 v4, v4                                       // 000000004274: 7E084504
	v_rcp_f32_e32 v5, v5                                       // 000000004278: 7E0A4505
	v_rcp_f32_e32 v6, v6                                       // 00000000427C: 7E0C4506
	v_rcp_f32_e32 v7, v7                                       // 000000004280: 7E0E4507
	v_mul_f32_e32 v84, v84, v4                                 // 000000004284: 0AA80954
	v_mul_f32_e32 v85, v85, v5                                 // 000000004288: 0AAA0B55
	v_mul_f32_e32 v86, v86, v6                                 // 00000000428C: 0AAC0D56
	v_mul_f32_e32 v87, v87, v7                                 // 000000004290: 0AAE0F57
	v_mul_f32_e32 v84, v84, v112                               // 000000004294: 0AA8E154
	v_mul_f32_e32 v85, v85, v113                               // 000000004298: 0AAAE355
	v_mul_f32_e32 v86, v86, v114                               // 00000000429C: 0AACE556
	v_mul_f32_e32 v87, v87, v115                               // 0000000042A0: 0AAEE757
	v_pk_mul_f32 v[4:5], v[88:89], v[88:89]                    // 0000000042A4: D3B14004 1802B158
	v_pk_mul_f32 v[6:7], v[90:91], v[90:91]                    // 0000000042AC: D3B14006 1802B55A
	v_pk_fma_f32 v[4:5], v[4:5], s[78:79], v[8:9]              // 0000000042B4: D3B04004 1C209D04
	v_pk_fma_f32 v[6:7], v[6:7], s[78:79], v[8:9]              // 0000000042BC: D3B04006 1C209D06
	v_pk_mul_f32 v[4:5], v[4:5], v[88:89]                      // 0000000042C4: D3B14004 1802B104
	v_pk_mul_f32 v[6:7], v[6:7], v[90:91]                      // 0000000042CC: D3B14006 1802B506
	v_pk_mul_f32 v[4:5], v[4:5], s[60:61]                      // 0000000042D4: D3B14004 18007904
	v_pk_mul_f32 v[6:7], v[6:7], s[60:61]                      // 0000000042DC: D3B14006 18007906
	v_exp_f32_e32 v4, v4                                       // 0000000042E4: 7E084104
	v_exp_f32_e32 v5, v5                                       // 0000000042E8: 7E0A4105
	v_exp_f32_e32 v6, v6                                       // 0000000042EC: 7E0C4106
	v_exp_f32_e32 v7, v7                                       // 0000000042F0: 7E0E4107
	v_add_f32_e64 v4, v4, 1.0                                  // 0000000042F4: D1010004 0001E504
	v_add_f32_e64 v5, v5, 1.0                                  // 0000000042FC: D1010005 0001E505
	v_add_f32_e64 v6, v6, 1.0                                  // 000000004304: D1010006 0001E506
	v_add_f32_e64 v7, v7, 1.0                                  // 00000000430C: D1010007 0001E507
	v_rcp_f32_e32 v4, v4                                       // 000000004314: 7E084504
	v_rcp_f32_e32 v5, v5                                       // 000000004318: 7E0A4505
	v_rcp_f32_e32 v6, v6                                       // 00000000431C: 7E0C4506
	v_rcp_f32_e32 v7, v7                                       // 000000004320: 7E0E4507
	v_mul_f32_e32 v88, v88, v4                                 // 000000004324: 0AB00958
	v_mul_f32_e32 v89, v89, v5                                 // 000000004328: 0AB20B59
	v_mul_f32_e32 v90, v90, v6                                 // 00000000432C: 0AB40D5A
	v_mul_f32_e32 v91, v91, v7                                 // 000000004330: 0AB60F5B
	v_mul_f32_e32 v88, v88, v116                               // 000000004334: 0AB0E958
	v_mul_f32_e32 v89, v89, v117                               // 000000004338: 0AB2EB59
	v_mul_f32_e32 v90, v90, v118                               // 00000000433C: 0AB4ED5A
	v_mul_f32_e32 v91, v91, v119                               // 000000004340: 0AB6EF5B
	v_pk_mul_f32 v[4:5], v[92:93], v[92:93]                    // 000000004344: D3B14004 1802B95C
	v_pk_mul_f32 v[6:7], v[94:95], v[94:95]                    // 00000000434C: D3B14006 1802BD5E
	v_pk_fma_f32 v[4:5], v[4:5], s[78:79], v[8:9]              // 000000004354: D3B04004 1C209D04
	v_pk_fma_f32 v[6:7], v[6:7], s[78:79], v[8:9]              // 00000000435C: D3B04006 1C209D06
	v_pk_mul_f32 v[4:5], v[4:5], v[92:93]                      // 000000004364: D3B14004 1802B904
	v_pk_mul_f32 v[6:7], v[6:7], v[94:95]                      // 00000000436C: D3B14006 1802BD06
	v_pk_mul_f32 v[4:5], v[4:5], s[60:61]                      // 000000004374: D3B14004 18007904
	v_pk_mul_f32 v[6:7], v[6:7], s[60:61]                      // 00000000437C: D3B14006 18007906
	v_exp_f32_e32 v4, v4                                       // 000000004384: 7E084104
	v_exp_f32_e32 v5, v5                                       // 000000004388: 7E0A4105
	v_exp_f32_e32 v6, v6                                       // 00000000438C: 7E0C4106
	v_exp_f32_e32 v7, v7                                       // 000000004390: 7E0E4107
	v_add_f32_e64 v4, v4, 1.0                                  // 000000004394: D1010004 0001E504
	v_add_f32_e64 v5, v5, 1.0                                  // 00000000439C: D1010005 0001E505
	v_add_f32_e64 v6, v6, 1.0                                  // 0000000043A4: D1010006 0001E506
	v_add_f32_e64 v7, v7, 1.0                                  // 0000000043AC: D1010007 0001E507
	v_rcp_f32_e32 v4, v4                                       // 0000000043B4: 7E084504
	v_rcp_f32_e32 v5, v5                                       // 0000000043B8: 7E0A4505
	v_rcp_f32_e32 v6, v6                                       // 0000000043BC: 7E0C4506
	v_rcp_f32_e32 v7, v7                                       // 0000000043C0: 7E0E4507
	v_mul_f32_e32 v92, v92, v4                                 // 0000000043C4: 0AB8095C
	v_mul_f32_e32 v93, v93, v5                                 // 0000000043C8: 0ABA0B5D
	v_mul_f32_e32 v94, v94, v6                                 // 0000000043CC: 0ABC0D5E
	v_mul_f32_e32 v95, v95, v7                                 // 0000000043D0: 0ABE0F5F
	v_mul_f32_e32 v92, v92, v120                               // 0000000043D4: 0AB8F15C
	v_mul_f32_e32 v93, v93, v121                               // 0000000043D8: 0ABAF35D
	v_mul_f32_e32 v94, v94, v122                               // 0000000043DC: 0ABCF55E
	v_mul_f32_e32 v95, v95, v123                               // 0000000043E0: 0ABEF75F
	v_pk_mul_f32 v[4:5], v[96:97], v[96:97]                    // 0000000043E4: D3B14004 1802C160
	v_pk_mul_f32 v[6:7], v[98:99], v[98:99]                    // 0000000043EC: D3B14006 1802C562
	v_pk_fma_f32 v[4:5], v[4:5], s[78:79], v[8:9]              // 0000000043F4: D3B04004 1C209D04
	v_pk_fma_f32 v[6:7], v[6:7], s[78:79], v[8:9]              // 0000000043FC: D3B04006 1C209D06
	v_pk_mul_f32 v[4:5], v[4:5], v[96:97]                      // 000000004404: D3B14004 1802C104
	v_pk_mul_f32 v[6:7], v[6:7], v[98:99]                      // 00000000440C: D3B14006 1802C506
	v_pk_mul_f32 v[4:5], v[4:5], s[60:61]                      // 000000004414: D3B14004 18007904
	v_pk_mul_f32 v[6:7], v[6:7], s[60:61]                      // 00000000441C: D3B14006 18007906
	v_exp_f32_e32 v4, v4                                       // 000000004424: 7E084104
	v_exp_f32_e32 v5, v5                                       // 000000004428: 7E0A4105
	v_exp_f32_e32 v6, v6                                       // 00000000442C: 7E0C4106
	v_exp_f32_e32 v7, v7                                       // 000000004430: 7E0E4107
	v_add_f32_e64 v4, v4, 1.0                                  // 000000004434: D1010004 0001E504
	v_add_f32_e64 v5, v5, 1.0                                  // 00000000443C: D1010005 0001E505
	v_add_f32_e64 v6, v6, 1.0                                  // 000000004444: D1010006 0001E506
	v_add_f32_e64 v7, v7, 1.0                                  // 00000000444C: D1010007 0001E507
	v_rcp_f32_e32 v4, v4                                       // 000000004454: 7E084504
	v_rcp_f32_e32 v5, v5                                       // 000000004458: 7E0A4505
	v_rcp_f32_e32 v6, v6                                       // 00000000445C: 7E0C4506
	v_rcp_f32_e32 v7, v7                                       // 000000004460: 7E0E4507
	v_mul_f32_e32 v96, v96, v4                                 // 000000004464: 0AC00960
	v_mul_f32_e32 v97, v97, v5                                 // 000000004468: 0AC20B61
	v_mul_f32_e32 v98, v98, v6                                 // 00000000446C: 0AC40D62
	v_mul_f32_e32 v99, v99, v7                                 // 000000004470: 0AC60F63
	v_mul_f32_e32 v96, v96, v124                               // 000000004474: 0AC0F960
	v_mul_f32_e32 v97, v97, v125                               // 000000004478: 0AC2FB61
	v_mul_f32_e32 v98, v98, v126                               // 00000000447C: 0AC4FD62
	v_mul_f32_e32 v99, v99, v127                               // 000000004480: 0AC6FF63
	s_branch label_0782                                        // 000000004484: BF8200E0

0000000000004488 <label_06A2>:
	v_mul_f32_e64 v4, -v72, s6                                 // 000000004488: D1050004 20000D48
	v_mul_f32_e64 v5, -v73, s6                                 // 000000004490: D1050005 20000D49
	v_mul_f32_e64 v6, -v74, s6                                 // 000000004498: D1050006 20000D4A
	v_mul_f32_e64 v7, -v75, s6                                 // 0000000044A0: D1050007 20000D4B
	v_exp_f32_e32 v4, v4                                       // 0000000044A8: 7E084104
	v_exp_f32_e32 v5, v5                                       // 0000000044AC: 7E0A4105
	v_exp_f32_e32 v6, v6                                       // 0000000044B0: 7E0C4106
	v_exp_f32_e32 v7, v7                                       // 0000000044B4: 7E0E4107
	v_add_f32_e64 v4, v4, 1.0                                  // 0000000044B8: D1010004 0001E504
	v_add_f32_e64 v5, v5, 1.0                                  // 0000000044C0: D1010005 0001E505
	v_add_f32_e64 v6, v6, 1.0                                  // 0000000044C8: D1010006 0001E506
	v_add_f32_e64 v7, v7, 1.0                                  // 0000000044D0: D1010007 0001E507
	v_rcp_f32_e32 v4, v4                                       // 0000000044D8: 7E084504
	v_rcp_f32_e32 v5, v5                                       // 0000000044DC: 7E0A4505
	v_rcp_f32_e32 v6, v6                                       // 0000000044E0: 7E0C4506
	v_rcp_f32_e32 v7, v7                                       // 0000000044E4: 7E0E4507
	v_mul_f32_e32 v72, v72, v4                                 // 0000000044E8: 0A900948
	v_mul_f32_e32 v73, v73, v5                                 // 0000000044EC: 0A920B49
	v_mul_f32_e32 v74, v74, v6                                 // 0000000044F0: 0A940D4A
	v_mul_f32_e32 v75, v75, v7                                 // 0000000044F4: 0A960F4B
	v_mul_f32_e32 v72, v72, v100                               // 0000000044F8: 0A90C948
	v_mul_f32_e32 v73, v73, v101                               // 0000000044FC: 0A92CB49
	v_mul_f32_e32 v74, v74, v102                               // 000000004500: 0A94CD4A
	v_mul_f32_e32 v75, v75, v103                               // 000000004504: 0A96CF4B
	v_mul_f32_e64 v4, -v76, s6                                 // 000000004508: D1050004 20000D4C
	v_mul_f32_e64 v5, -v77, s6                                 // 000000004510: D1050005 20000D4D
	v_mul_f32_e64 v6, -v78, s6                                 // 000000004518: D1050006 20000D4E
	v_mul_f32_e64 v7, -v79, s6                                 // 000000004520: D1050007 20000D4F
	v_exp_f32_e32 v4, v4                                       // 000000004528: 7E084104
	v_exp_f32_e32 v5, v5                                       // 00000000452C: 7E0A4105
	v_exp_f32_e32 v6, v6                                       // 000000004530: 7E0C4106
	v_exp_f32_e32 v7, v7                                       // 000000004534: 7E0E4107
	v_add_f32_e64 v4, v4, 1.0                                  // 000000004538: D1010004 0001E504
	v_add_f32_e64 v5, v5, 1.0                                  // 000000004540: D1010005 0001E505
	v_add_f32_e64 v6, v6, 1.0                                  // 000000004548: D1010006 0001E506
	v_add_f32_e64 v7, v7, 1.0                                  // 000000004550: D1010007 0001E507
	v_rcp_f32_e32 v4, v4                                       // 000000004558: 7E084504
	v_rcp_f32_e32 v5, v5                                       // 00000000455C: 7E0A4505
	v_rcp_f32_e32 v6, v6                                       // 000000004560: 7E0C4506
	v_rcp_f32_e32 v7, v7                                       // 000000004564: 7E0E4507
	v_mul_f32_e32 v76, v76, v4                                 // 000000004568: 0A98094C
	v_mul_f32_e32 v77, v77, v5                                 // 00000000456C: 0A9A0B4D
	v_mul_f32_e32 v78, v78, v6                                 // 000000004570: 0A9C0D4E
	v_mul_f32_e32 v79, v79, v7                                 // 000000004574: 0A9E0F4F
	v_mul_f32_e32 v76, v76, v104                               // 000000004578: 0A98D14C
	v_mul_f32_e32 v77, v77, v105                               // 00000000457C: 0A9AD34D
	v_mul_f32_e32 v78, v78, v106                               // 000000004580: 0A9CD54E
	v_mul_f32_e32 v79, v79, v107                               // 000000004584: 0A9ED74F
	v_mul_f32_e64 v4, -v80, s6                                 // 000000004588: D1050004 20000D50
	v_mul_f32_e64 v5, -v81, s6                                 // 000000004590: D1050005 20000D51
	v_mul_f32_e64 v6, -v82, s6                                 // 000000004598: D1050006 20000D52
	v_mul_f32_e64 v7, -v83, s6                                 // 0000000045A0: D1050007 20000D53
	v_exp_f32_e32 v4, v4                                       // 0000000045A8: 7E084104
	v_exp_f32_e32 v5, v5                                       // 0000000045AC: 7E0A4105
	v_exp_f32_e32 v6, v6                                       // 0000000045B0: 7E0C4106
	v_exp_f32_e32 v7, v7                                       // 0000000045B4: 7E0E4107
	v_add_f32_e64 v4, v4, 1.0                                  // 0000000045B8: D1010004 0001E504
	v_add_f32_e64 v5, v5, 1.0                                  // 0000000045C0: D1010005 0001E505
	v_add_f32_e64 v6, v6, 1.0                                  // 0000000045C8: D1010006 0001E506
	v_add_f32_e64 v7, v7, 1.0                                  // 0000000045D0: D1010007 0001E507
	v_rcp_f32_e32 v4, v4                                       // 0000000045D8: 7E084504
	v_rcp_f32_e32 v5, v5                                       // 0000000045DC: 7E0A4505
	v_rcp_f32_e32 v6, v6                                       // 0000000045E0: 7E0C4506
	v_rcp_f32_e32 v7, v7                                       // 0000000045E4: 7E0E4507
	v_mul_f32_e32 v80, v80, v4                                 // 0000000045E8: 0AA00950
	v_mul_f32_e32 v81, v81, v5                                 // 0000000045EC: 0AA20B51
	v_mul_f32_e32 v82, v82, v6                                 // 0000000045F0: 0AA40D52
	v_mul_f32_e32 v83, v83, v7                                 // 0000000045F4: 0AA60F53
	v_mul_f32_e32 v80, v80, v108                               // 0000000045F8: 0AA0D950
	v_mul_f32_e32 v81, v81, v109                               // 0000000045FC: 0AA2DB51
	v_mul_f32_e32 v82, v82, v110                               // 000000004600: 0AA4DD52
	v_mul_f32_e32 v83, v83, v111                               // 000000004604: 0AA6DF53
	v_mul_f32_e64 v4, -v84, s6                                 // 000000004608: D1050004 20000D54
	v_mul_f32_e64 v5, -v85, s6                                 // 000000004610: D1050005 20000D55
	v_mul_f32_e64 v6, -v86, s6                                 // 000000004618: D1050006 20000D56
	v_mul_f32_e64 v7, -v87, s6                                 // 000000004620: D1050007 20000D57
	v_exp_f32_e32 v4, v4                                       // 000000004628: 7E084104
	v_exp_f32_e32 v5, v5                                       // 00000000462C: 7E0A4105
	v_exp_f32_e32 v6, v6                                       // 000000004630: 7E0C4106
	v_exp_f32_e32 v7, v7                                       // 000000004634: 7E0E4107
	v_add_f32_e64 v4, v4, 1.0                                  // 000000004638: D1010004 0001E504
	v_add_f32_e64 v5, v5, 1.0                                  // 000000004640: D1010005 0001E505
	v_add_f32_e64 v6, v6, 1.0                                  // 000000004648: D1010006 0001E506
	v_add_f32_e64 v7, v7, 1.0                                  // 000000004650: D1010007 0001E507
	v_rcp_f32_e32 v4, v4                                       // 000000004658: 7E084504
	v_rcp_f32_e32 v5, v5                                       // 00000000465C: 7E0A4505
	v_rcp_f32_e32 v6, v6                                       // 000000004660: 7E0C4506
	v_rcp_f32_e32 v7, v7                                       // 000000004664: 7E0E4507
	v_mul_f32_e32 v84, v84, v4                                 // 000000004668: 0AA80954
	v_mul_f32_e32 v85, v85, v5                                 // 00000000466C: 0AAA0B55
	v_mul_f32_e32 v86, v86, v6                                 // 000000004670: 0AAC0D56
	v_mul_f32_e32 v87, v87, v7                                 // 000000004674: 0AAE0F57
	v_mul_f32_e32 v84, v84, v112                               // 000000004678: 0AA8E154
	v_mul_f32_e32 v85, v85, v113                               // 00000000467C: 0AAAE355
	v_mul_f32_e32 v86, v86, v114                               // 000000004680: 0AACE556
	v_mul_f32_e32 v87, v87, v115                               // 000000004684: 0AAEE757
	v_mul_f32_e64 v4, -v88, s6                                 // 000000004688: D1050004 20000D58
	v_mul_f32_e64 v5, -v89, s6                                 // 000000004690: D1050005 20000D59
	v_mul_f32_e64 v6, -v90, s6                                 // 000000004698: D1050006 20000D5A
	v_mul_f32_e64 v7, -v91, s6                                 // 0000000046A0: D1050007 20000D5B
	v_exp_f32_e32 v4, v4                                       // 0000000046A8: 7E084104
	v_exp_f32_e32 v5, v5                                       // 0000000046AC: 7E0A4105
	v_exp_f32_e32 v6, v6                                       // 0000000046B0: 7E0C4106
	v_exp_f32_e32 v7, v7                                       // 0000000046B4: 7E0E4107
	v_add_f32_e64 v4, v4, 1.0                                  // 0000000046B8: D1010004 0001E504
	v_add_f32_e64 v5, v5, 1.0                                  // 0000000046C0: D1010005 0001E505
	v_add_f32_e64 v6, v6, 1.0                                  // 0000000046C8: D1010006 0001E506
	v_add_f32_e64 v7, v7, 1.0                                  // 0000000046D0: D1010007 0001E507
	v_rcp_f32_e32 v4, v4                                       // 0000000046D8: 7E084504
	v_rcp_f32_e32 v5, v5                                       // 0000000046DC: 7E0A4505
	v_rcp_f32_e32 v6, v6                                       // 0000000046E0: 7E0C4506
	v_rcp_f32_e32 v7, v7                                       // 0000000046E4: 7E0E4507
	v_mul_f32_e32 v88, v88, v4                                 // 0000000046E8: 0AB00958
	v_mul_f32_e32 v89, v89, v5                                 // 0000000046EC: 0AB20B59
	v_mul_f32_e32 v90, v90, v6                                 // 0000000046F0: 0AB40D5A
	v_mul_f32_e32 v91, v91, v7                                 // 0000000046F4: 0AB60F5B
	v_mul_f32_e32 v88, v88, v116                               // 0000000046F8: 0AB0E958
	v_mul_f32_e32 v89, v89, v117                               // 0000000046FC: 0AB2EB59
	v_mul_f32_e32 v90, v90, v118                               // 000000004700: 0AB4ED5A
	v_mul_f32_e32 v91, v91, v119                               // 000000004704: 0AB6EF5B
	v_mul_f32_e64 v4, -v92, s6                                 // 000000004708: D1050004 20000D5C
	v_mul_f32_e64 v5, -v93, s6                                 // 000000004710: D1050005 20000D5D
	v_mul_f32_e64 v6, -v94, s6                                 // 000000004718: D1050006 20000D5E
	v_mul_f32_e64 v7, -v95, s6                                 // 000000004720: D1050007 20000D5F
	v_exp_f32_e32 v4, v4                                       // 000000004728: 7E084104
	v_exp_f32_e32 v5, v5                                       // 00000000472C: 7E0A4105
	v_exp_f32_e32 v6, v6                                       // 000000004730: 7E0C4106
	v_exp_f32_e32 v7, v7                                       // 000000004734: 7E0E4107
	v_add_f32_e64 v4, v4, 1.0                                  // 000000004738: D1010004 0001E504
	v_add_f32_e64 v5, v5, 1.0                                  // 000000004740: D1010005 0001E505
	v_add_f32_e64 v6, v6, 1.0                                  // 000000004748: D1010006 0001E506
	v_add_f32_e64 v7, v7, 1.0                                  // 000000004750: D1010007 0001E507
	v_rcp_f32_e32 v4, v4                                       // 000000004758: 7E084504
	v_rcp_f32_e32 v5, v5                                       // 00000000475C: 7E0A4505
	v_rcp_f32_e32 v6, v6                                       // 000000004760: 7E0C4506
	v_rcp_f32_e32 v7, v7                                       // 000000004764: 7E0E4507
	v_mul_f32_e32 v92, v92, v4                                 // 000000004768: 0AB8095C
	v_mul_f32_e32 v93, v93, v5                                 // 00000000476C: 0ABA0B5D
	v_mul_f32_e32 v94, v94, v6                                 // 000000004770: 0ABC0D5E
	v_mul_f32_e32 v95, v95, v7                                 // 000000004774: 0ABE0F5F
	v_mul_f32_e32 v92, v92, v120                               // 000000004778: 0AB8F15C
	v_mul_f32_e32 v93, v93, v121                               // 00000000477C: 0ABAF35D
	v_mul_f32_e32 v94, v94, v122                               // 000000004780: 0ABCF55E
	v_mul_f32_e32 v95, v95, v123                               // 000000004784: 0ABEF75F
	v_mul_f32_e64 v4, -v96, s6                                 // 000000004788: D1050004 20000D60
	v_mul_f32_e64 v5, -v97, s6                                 // 000000004790: D1050005 20000D61
	v_mul_f32_e64 v6, -v98, s6                                 // 000000004798: D1050006 20000D62
	v_mul_f32_e64 v7, -v99, s6                                 // 0000000047A0: D1050007 20000D63
	v_exp_f32_e32 v4, v4                                       // 0000000047A8: 7E084104
	v_exp_f32_e32 v5, v5                                       // 0000000047AC: 7E0A4105
	v_exp_f32_e32 v6, v6                                       // 0000000047B0: 7E0C4106
	v_exp_f32_e32 v7, v7                                       // 0000000047B4: 7E0E4107
	v_add_f32_e64 v4, v4, 1.0                                  // 0000000047B8: D1010004 0001E504
	v_add_f32_e64 v5, v5, 1.0                                  // 0000000047C0: D1010005 0001E505
	v_add_f32_e64 v6, v6, 1.0                                  // 0000000047C8: D1010006 0001E506
	v_add_f32_e64 v7, v7, 1.0                                  // 0000000047D0: D1010007 0001E507
	v_rcp_f32_e32 v4, v4                                       // 0000000047D8: 7E084504
	v_rcp_f32_e32 v5, v5                                       // 0000000047DC: 7E0A4505
	v_rcp_f32_e32 v6, v6                                       // 0000000047E0: 7E0C4506
	v_rcp_f32_e32 v7, v7                                       // 0000000047E4: 7E0E4507
	v_mul_f32_e32 v96, v96, v4                                 // 0000000047E8: 0AC00960
	v_mul_f32_e32 v97, v97, v5                                 // 0000000047EC: 0AC20B61
	v_mul_f32_e32 v98, v98, v6                                 // 0000000047F0: 0AC40D62
	v_mul_f32_e32 v99, v99, v7                                 // 0000000047F4: 0AC60F63
	v_mul_f32_e32 v96, v96, v124                               // 0000000047F8: 0AC0F960
	v_mul_f32_e32 v97, v97, v125                               // 0000000047FC: 0AC2FB61
	v_mul_f32_e32 v98, v98, v126                               // 000000004800: 0AC4FD62
	v_mul_f32_e32 v99, v99, v127                               // 000000004804: 0AC6FF63

0000000000004808 <label_0782>:
	v_cmp_u_f32_e64 s[46:47], v72, v72                         // 000000004808: D048002E 00029148
	v_add3_u32 v16, v72, v19, 1                                // 000000004810: D1FF0010 02062748
	v_cndmask_b32_e64 v4, v16, v18, s[46:47]                   // 000000004818: D1000004 00BA2510
	v_cmp_u_f32_e64 s[46:47], v73, v73                         // 000000004820: D048002E 00029349
	v_add3_u32 v16, v73, v19, 1                                // 000000004828: D1FF0010 02062749
	v_cndmask_b32_e64 v5, v16, v18, s[46:47]                   // 000000004830: D1000005 00BA2510
	v_perm_b32 v72, v5, v4, s52                                // 000000004838: D1ED0048 00D20905
	v_cmp_u_f32_e64 s[46:47], v74, v74                         // 000000004840: D048002E 0002954A
	v_add3_u32 v16, v74, v19, 1                                // 000000004848: D1FF0010 0206274A
	v_cndmask_b32_e64 v4, v16, v18, s[46:47]                   // 000000004850: D1000004 00BA2510
	v_cmp_u_f32_e64 s[46:47], v75, v75                         // 000000004858: D048002E 0002974B
	v_add3_u32 v16, v75, v19, 1                                // 000000004860: D1FF0010 0206274B
	v_cndmask_b32_e64 v5, v16, v18, s[46:47]                   // 000000004868: D1000005 00BA2510
	v_perm_b32 v73, v5, v4, s52                                // 000000004870: D1ED0049 00D20905
	v_cmp_u_f32_e64 s[46:47], v76, v76                         // 000000004878: D048002E 0002994C
	v_add3_u32 v16, v76, v19, 1                                // 000000004880: D1FF0010 0206274C
	v_cndmask_b32_e64 v4, v16, v18, s[46:47]                   // 000000004888: D1000004 00BA2510
	v_cmp_u_f32_e64 s[46:47], v77, v77                         // 000000004890: D048002E 00029B4D
	v_add3_u32 v16, v77, v19, 1                                // 000000004898: D1FF0010 0206274D
	v_cndmask_b32_e64 v5, v16, v18, s[46:47]                   // 0000000048A0: D1000005 00BA2510
	v_perm_b32 v74, v5, v4, s52                                // 0000000048A8: D1ED004A 00D20905
	v_cmp_u_f32_e64 s[46:47], v78, v78                         // 0000000048B0: D048002E 00029D4E
	v_add3_u32 v16, v78, v19, 1                                // 0000000048B8: D1FF0010 0206274E
	v_cndmask_b32_e64 v4, v16, v18, s[46:47]                   // 0000000048C0: D1000004 00BA2510
	v_cmp_u_f32_e64 s[46:47], v79, v79                         // 0000000048C8: D048002E 00029F4F
	v_add3_u32 v16, v79, v19, 1                                // 0000000048D0: D1FF0010 0206274F
	v_cndmask_b32_e64 v5, v16, v18, s[46:47]                   // 0000000048D8: D1000005 00BA2510
	v_perm_b32 v75, v5, v4, s52                                // 0000000048E0: D1ED004B 00D20905
	v_cmp_u_f32_e64 s[46:47], v80, v80                         // 0000000048E8: D048002E 0002A150
	v_add3_u32 v16, v80, v19, 1                                // 0000000048F0: D1FF0010 02062750
	v_cndmask_b32_e64 v4, v16, v18, s[46:47]                   // 0000000048F8: D1000004 00BA2510
	v_cmp_u_f32_e64 s[46:47], v81, v81                         // 000000004900: D048002E 0002A351
	v_add3_u32 v16, v81, v19, 1                                // 000000004908: D1FF0010 02062751
	v_cndmask_b32_e64 v5, v16, v18, s[46:47]                   // 000000004910: D1000005 00BA2510
	v_perm_b32 v76, v5, v4, s52                                // 000000004918: D1ED004C 00D20905
	v_cmp_u_f32_e64 s[46:47], v82, v82                         // 000000004920: D048002E 0002A552
	v_add3_u32 v16, v82, v19, 1                                // 000000004928: D1FF0010 02062752
	v_cndmask_b32_e64 v4, v16, v18, s[46:47]                   // 000000004930: D1000004 00BA2510
	v_cmp_u_f32_e64 s[46:47], v83, v83                         // 000000004938: D048002E 0002A753
	v_add3_u32 v16, v83, v19, 1                                // 000000004940: D1FF0010 02062753
	v_cndmask_b32_e64 v5, v16, v18, s[46:47]                   // 000000004948: D1000005 00BA2510
	v_perm_b32 v77, v5, v4, s52                                // 000000004950: D1ED004D 00D20905
	v_cmp_u_f32_e64 s[46:47], v84, v84                         // 000000004958: D048002E 0002A954
	v_add3_u32 v16, v84, v19, 1                                // 000000004960: D1FF0010 02062754
	v_cndmask_b32_e64 v4, v16, v18, s[46:47]                   // 000000004968: D1000004 00BA2510
	v_cmp_u_f32_e64 s[46:47], v85, v85                         // 000000004970: D048002E 0002AB55
	v_add3_u32 v16, v85, v19, 1                                // 000000004978: D1FF0010 02062755
	v_cndmask_b32_e64 v5, v16, v18, s[46:47]                   // 000000004980: D1000005 00BA2510
	v_perm_b32 v78, v5, v4, s52                                // 000000004988: D1ED004E 00D20905
	v_cmp_u_f32_e64 s[46:47], v86, v86                         // 000000004990: D048002E 0002AD56
	v_add3_u32 v16, v86, v19, 1                                // 000000004998: D1FF0010 02062756
	v_cndmask_b32_e64 v4, v16, v18, s[46:47]                   // 0000000049A0: D1000004 00BA2510
	v_cmp_u_f32_e64 s[46:47], v87, v87                         // 0000000049A8: D048002E 0002AF57
	v_add3_u32 v16, v87, v19, 1                                // 0000000049B0: D1FF0010 02062757
	v_cndmask_b32_e64 v5, v16, v18, s[46:47]                   // 0000000049B8: D1000005 00BA2510
	v_perm_b32 v79, v5, v4, s52                                // 0000000049C0: D1ED004F 00D20905
	v_cmp_u_f32_e64 s[46:47], v88, v88                         // 0000000049C8: D048002E 0002B158
	v_add3_u32 v16, v88, v19, 1                                // 0000000049D0: D1FF0010 02062758
	v_cndmask_b32_e64 v4, v16, v18, s[46:47]                   // 0000000049D8: D1000004 00BA2510
	v_cmp_u_f32_e64 s[46:47], v89, v89                         // 0000000049E0: D048002E 0002B359
	v_add3_u32 v16, v89, v19, 1                                // 0000000049E8: D1FF0010 02062759
	v_cndmask_b32_e64 v5, v16, v18, s[46:47]                   // 0000000049F0: D1000005 00BA2510
	v_perm_b32 v80, v5, v4, s52                                // 0000000049F8: D1ED0050 00D20905
	v_cmp_u_f32_e64 s[46:47], v90, v90                         // 000000004A00: D048002E 0002B55A
	v_add3_u32 v16, v90, v19, 1                                // 000000004A08: D1FF0010 0206275A
	v_cndmask_b32_e64 v4, v16, v18, s[46:47]                   // 000000004A10: D1000004 00BA2510
	v_cmp_u_f32_e64 s[46:47], v91, v91                         // 000000004A18: D048002E 0002B75B
	v_add3_u32 v16, v91, v19, 1                                // 000000004A20: D1FF0010 0206275B
	v_cndmask_b32_e64 v5, v16, v18, s[46:47]                   // 000000004A28: D1000005 00BA2510
	v_perm_b32 v81, v5, v4, s52                                // 000000004A30: D1ED0051 00D20905
	v_cmp_u_f32_e64 s[46:47], v92, v92                         // 000000004A38: D048002E 0002B95C
	v_add3_u32 v16, v92, v19, 1                                // 000000004A40: D1FF0010 0206275C
	v_cndmask_b32_e64 v4, v16, v18, s[46:47]                   // 000000004A48: D1000004 00BA2510
	v_cmp_u_f32_e64 s[46:47], v93, v93                         // 000000004A50: D048002E 0002BB5D
	v_add3_u32 v16, v93, v19, 1                                // 000000004A58: D1FF0010 0206275D
	v_cndmask_b32_e64 v5, v16, v18, s[46:47]                   // 000000004A60: D1000005 00BA2510
	v_perm_b32 v82, v5, v4, s52                                // 000000004A68: D1ED0052 00D20905
	v_cmp_u_f32_e64 s[46:47], v94, v94                         // 000000004A70: D048002E 0002BD5E
	v_add3_u32 v16, v94, v19, 1                                // 000000004A78: D1FF0010 0206275E
	v_cndmask_b32_e64 v4, v16, v18, s[46:47]                   // 000000004A80: D1000004 00BA2510
	v_cmp_u_f32_e64 s[46:47], v95, v95                         // 000000004A88: D048002E 0002BF5F
	v_add3_u32 v16, v95, v19, 1                                // 000000004A90: D1FF0010 0206275F
	v_cndmask_b32_e64 v5, v16, v18, s[46:47]                   // 000000004A98: D1000005 00BA2510
	v_perm_b32 v83, v5, v4, s52                                // 000000004AA0: D1ED0053 00D20905
	v_cmp_u_f32_e64 s[46:47], v96, v96                         // 000000004AA8: D048002E 0002C160
	v_add3_u32 v16, v96, v19, 1                                // 000000004AB0: D1FF0010 02062760
	v_cndmask_b32_e64 v4, v16, v18, s[46:47]                   // 000000004AB8: D1000004 00BA2510
	v_cmp_u_f32_e64 s[46:47], v97, v97                         // 000000004AC0: D048002E 0002C361
	v_add3_u32 v16, v97, v19, 1                                // 000000004AC8: D1FF0010 02062761
	v_cndmask_b32_e64 v5, v16, v18, s[46:47]                   // 000000004AD0: D1000005 00BA2510
	v_perm_b32 v84, v5, v4, s52                                // 000000004AD8: D1ED0054 00D20905
	v_cmp_u_f32_e64 s[46:47], v98, v98                         // 000000004AE0: D048002E 0002C562
	v_add3_u32 v16, v98, v19, 1                                // 000000004AE8: D1FF0010 02062762
	v_cndmask_b32_e64 v4, v16, v18, s[46:47]                   // 000000004AF0: D1000004 00BA2510
	v_cmp_u_f32_e64 s[46:47], v99, v99                         // 000000004AF8: D048002E 0002C763
	v_add3_u32 v16, v99, v19, 1                                // 000000004B00: D1FF0010 02062763
	v_cndmask_b32_e64 v5, v16, v18, s[46:47]                   // 000000004B08: D1000005 00BA2510
	v_perm_b32 v85, v5, v4, s52                                // 000000004B10: D1ED0055 00D20905
	ds_write_b64 v20, v[72:73]                                 // 000000004B18: D89A0000 00004814
	ds_write_b64 v20, v[74:75] offset:2176                     // 000000004B20: D89A0880 00004A14
	ds_write_b64 v20, v[76:77] offset:4352                     // 000000004B28: D89A1100 00004C14
	ds_write_b64 v20, v[78:79] offset:6528                     // 000000004B30: D89A1980 00004E14
	ds_write_b64 v20, v[80:81] offset:8704                     // 000000004B38: D89A2200 00005014
	ds_write_b64 v20, v[82:83] offset:10880                    // 000000004B40: D89A2A80 00005214
	ds_write_b64 v20, v[84:85] offset:13056                    // 000000004B48: D89A3300 00005414
	v_lshrrev_b32_e32 v4, 5, v0                                // 000000004B50: 20080085
	v_xor_b32_e32 v5, 1, v4                                    // 000000004B54: 2A0A0881
	s_mul_i32 s60, s65, 2                                      // 000000004B58: 923C8241
	s_cmp_eq_u32 s88, 0                                        // 000000004B5C: BF068058
	s_cselect_b32 s61, 1, 4                                    // 000000004B60: 853D8481
	s_mul_i32 s60, s61, s60                                    // 000000004B64: 923C3C3D
	v_readlane_b32 s82, v3, 0                                  // 000000004B68: D2890052 00010103
	s_lshr_b32 s61, s82, 24                                    // 000000004B70: 8F3D9852
	s_and_b32 s82, s82, 0xffffff                               // 000000004B74: 8652FF52 00FFFFFF
	s_mul_i32 s82, s82, s71                                    // 000000004B7C: 92524752
	s_mul_i32 s61, s60, s61                                    // 000000004B80: 923D3D3C
	s_add_u32 s82, s82, s61                                    // 000000004B84: 80523D52
	v_mul_lo_u32 v6, v5, s82                                   // 000000004B88: D2850006 0000A505
	v_readlane_b32 s82, v3, 1                                  // 000000004B90: D2890052 00010303
	s_lshr_b32 s61, s82, 24                                    // 000000004B98: 8F3D9852
	s_and_b32 s82, s82, 0xffffff                               // 000000004B9C: 8652FF52 00FFFFFF
	s_mul_i32 s82, s82, s71                                    // 000000004BA4: 92524752
	s_mul_i32 s61, s60, s61                                    // 000000004BA8: 923D3D3C
	s_add_u32 s82, s82, s61                                    // 000000004BAC: 80523D52
	v_mul_lo_u32 v7, v4, s82                                   // 000000004BB0: D2850007 0000A504
	v_add_u32_e32 v56, v6, v7                                  // 000000004BB8: 68700F06
	v_readlane_b32 s82, v3, 2                                  // 000000004BBC: D2890052 00010503
	s_lshr_b32 s61, s82, 24                                    // 000000004BC4: 8F3D9852
	s_and_b32 s82, s82, 0xffffff                               // 000000004BC8: 8652FF52 00FFFFFF
	s_mul_i32 s82, s82, s71                                    // 000000004BD0: 92524752
	s_mul_i32 s61, s60, s61                                    // 000000004BD4: 923D3D3C
	s_add_u32 s82, s82, s61                                    // 000000004BD8: 80523D52
	v_mul_lo_u32 v6, v5, s82                                   // 000000004BDC: D2850006 0000A505
	v_readlane_b32 s82, v3, 3                                  // 000000004BE4: D2890052 00010703
	s_lshr_b32 s61, s82, 24                                    // 000000004BEC: 8F3D9852
	s_and_b32 s82, s82, 0xffffff                               // 000000004BF0: 8652FF52 00FFFFFF
	s_mul_i32 s82, s82, s71                                    // 000000004BF8: 92524752
	s_mul_i32 s61, s60, s61                                    // 000000004BFC: 923D3D3C
	s_add_u32 s82, s82, s61                                    // 000000004C00: 80523D52
	v_mul_lo_u32 v7, v4, s82                                   // 000000004C04: D2850007 0000A504
	v_add_u32_e32 v57, v6, v7                                  // 000000004C0C: 68720F06
	v_readlane_b32 s82, v3, 4                                  // 000000004C10: D2890052 00010903
	s_lshr_b32 s61, s82, 24                                    // 000000004C18: 8F3D9852
	s_and_b32 s82, s82, 0xffffff                               // 000000004C1C: 8652FF52 00FFFFFF
	s_mul_i32 s82, s82, s71                                    // 000000004C24: 92524752
	s_mul_i32 s61, s60, s61                                    // 000000004C28: 923D3D3C
	s_add_u32 s82, s82, s61                                    // 000000004C2C: 80523D52
	v_mul_lo_u32 v6, v5, s82                                   // 000000004C30: D2850006 0000A505
	v_readlane_b32 s82, v3, 5                                  // 000000004C38: D2890052 00010B03
	s_lshr_b32 s61, s82, 24                                    // 000000004C40: 8F3D9852
	s_and_b32 s82, s82, 0xffffff                               // 000000004C44: 8652FF52 00FFFFFF
	s_mul_i32 s82, s82, s71                                    // 000000004C4C: 92524752
	s_mul_i32 s61, s60, s61                                    // 000000004C50: 923D3D3C
	s_add_u32 s82, s82, s61                                    // 000000004C54: 80523D52
	v_mul_lo_u32 v7, v4, s82                                   // 000000004C58: D2850007 0000A504
	v_add_u32_e32 v58, v6, v7                                  // 000000004C60: 68740F06
	v_readlane_b32 s82, v3, 6                                  // 000000004C64: D2890052 00010D03
	s_lshr_b32 s61, s82, 24                                    // 000000004C6C: 8F3D9852
	s_and_b32 s82, s82, 0xffffff                               // 000000004C70: 8652FF52 00FFFFFF
	s_mul_i32 s82, s82, s71                                    // 000000004C78: 92524752
	s_mul_i32 s61, s60, s61                                    // 000000004C7C: 923D3D3C
	s_add_u32 s82, s82, s61                                    // 000000004C80: 80523D52
	v_mul_lo_u32 v6, v5, s82                                   // 000000004C84: D2850006 0000A505
	v_readlane_b32 s82, v3, 7                                  // 000000004C8C: D2890052 00010F03
	s_lshr_b32 s61, s82, 24                                    // 000000004C94: 8F3D9852
	s_and_b32 s82, s82, 0xffffff                               // 000000004C98: 8652FF52 00FFFFFF
	s_mul_i32 s82, s82, s71                                    // 000000004CA0: 92524752
	s_mul_i32 s61, s60, s61                                    // 000000004CA4: 923D3D3C
	s_add_u32 s82, s82, s61                                    // 000000004CA8: 80523D52
	v_mul_lo_u32 v7, v4, s82                                   // 000000004CAC: D2850007 0000A504
	v_add_u32_e32 v59, v6, v7                                  // 000000004CB4: 68760F06
	v_readlane_b32 s82, v3, 8                                  // 000000004CB8: D2890052 00011103
	s_lshr_b32 s61, s82, 24                                    // 000000004CC0: 8F3D9852
	s_and_b32 s82, s82, 0xffffff                               // 000000004CC4: 8652FF52 00FFFFFF
	s_mul_i32 s82, s82, s71                                    // 000000004CCC: 92524752
	s_mul_i32 s61, s60, s61                                    // 000000004CD0: 923D3D3C
	s_add_u32 s82, s82, s61                                    // 000000004CD4: 80523D52
	v_mul_lo_u32 v6, v5, s82                                   // 000000004CD8: D2850006 0000A505
	v_readlane_b32 s82, v3, 9                                  // 000000004CE0: D2890052 00011303
	s_lshr_b32 s61, s82, 24                                    // 000000004CE8: 8F3D9852
	s_and_b32 s82, s82, 0xffffff                               // 000000004CEC: 8652FF52 00FFFFFF
	s_mul_i32 s82, s82, s71                                    // 000000004CF4: 92524752
	s_mul_i32 s61, s60, s61                                    // 000000004CF8: 923D3D3C
	s_add_u32 s82, s82, s61                                    // 000000004CFC: 80523D52
	v_mul_lo_u32 v7, v4, s82                                   // 000000004D00: D2850007 0000A504
	v_add_u32_e32 v60, v6, v7                                  // 000000004D08: 68780F06
	v_readlane_b32 s82, v3, 10                                 // 000000004D0C: D2890052 00011503
	s_lshr_b32 s61, s82, 24                                    // 000000004D14: 8F3D9852
	s_and_b32 s82, s82, 0xffffff                               // 000000004D18: 8652FF52 00FFFFFF
	s_mul_i32 s82, s82, s71                                    // 000000004D20: 92524752
	s_mul_i32 s61, s60, s61                                    // 000000004D24: 923D3D3C
	s_add_u32 s82, s82, s61                                    // 000000004D28: 80523D52
	v_mul_lo_u32 v6, v5, s82                                   // 000000004D2C: D2850006 0000A505
	v_readlane_b32 s82, v3, 11                                 // 000000004D34: D2890052 00011703
	s_lshr_b32 s61, s82, 24                                    // 000000004D3C: 8F3D9852
	s_and_b32 s82, s82, 0xffffff                               // 000000004D40: 8652FF52 00FFFFFF
	s_mul_i32 s82, s82, s71                                    // 000000004D48: 92524752
	s_mul_i32 s61, s60, s61                                    // 000000004D4C: 923D3D3C
	s_add_u32 s82, s82, s61                                    // 000000004D50: 80523D52
	v_mul_lo_u32 v7, v4, s82                                   // 000000004D54: D2850007 0000A504
	v_add_u32_e32 v61, v6, v7                                  // 000000004D5C: 687A0F06
	v_readlane_b32 s82, v3, 12                                 // 000000004D60: D2890052 00011903
	s_lshr_b32 s61, s82, 24                                    // 000000004D68: 8F3D9852
	s_and_b32 s82, s82, 0xffffff                               // 000000004D6C: 8652FF52 00FFFFFF
	s_mul_i32 s82, s82, s71                                    // 000000004D74: 92524752
	s_mul_i32 s61, s60, s61                                    // 000000004D78: 923D3D3C
	s_add_u32 s82, s82, s61                                    // 000000004D7C: 80523D52
	v_mul_lo_u32 v6, v5, s82                                   // 000000004D80: D2850006 0000A505
	v_readlane_b32 s82, v3, 13                                 // 000000004D88: D2890052 00011B03
	s_lshr_b32 s61, s82, 24                                    // 000000004D90: 8F3D9852
	s_and_b32 s82, s82, 0xffffff                               // 000000004D94: 8652FF52 00FFFFFF
	s_mul_i32 s82, s82, s71                                    // 000000004D9C: 92524752
	s_mul_i32 s61, s60, s61                                    // 000000004DA0: 923D3D3C
	s_add_u32 s82, s82, s61                                    // 000000004DA4: 80523D52
	v_mul_lo_u32 v7, v4, s82                                   // 000000004DA8: D2850007 0000A504
	v_add_u32_e32 v62, v6, v7                                  // 000000004DB0: 687C0F06
	v_readlane_b32 s82, v3, 14                                 // 000000004DB4: D2890052 00011D03
	s_lshr_b32 s61, s82, 24                                    // 000000004DBC: 8F3D9852
	s_and_b32 s82, s82, 0xffffff                               // 000000004DC0: 8652FF52 00FFFFFF
	s_mul_i32 s82, s82, s71                                    // 000000004DC8: 92524752
	s_mul_i32 s61, s60, s61                                    // 000000004DCC: 923D3D3C
	s_add_u32 s82, s82, s61                                    // 000000004DD0: 80523D52
	v_mul_lo_u32 v6, v5, s82                                   // 000000004DD4: D2850006 0000A505
	v_readlane_b32 s82, v3, 15                                 // 000000004DDC: D2890052 00011F03
	s_lshr_b32 s61, s82, 24                                    // 000000004DE4: 8F3D9852
	s_and_b32 s82, s82, 0xffffff                               // 000000004DE8: 8652FF52 00FFFFFF
	s_mul_i32 s82, s82, s71                                    // 000000004DF0: 92524752
	s_mul_i32 s61, s60, s61                                    // 000000004DF4: 923D3D3C
	s_add_u32 s82, s82, s61                                    // 000000004DF8: 80523D52
	v_mul_lo_u32 v7, v4, s82                                   // 000000004DFC: D2850007 0000A504
	v_add_u32_e32 v63, v6, v7                                  // 000000004E04: 687E0F06
	v_readlane_b32 s82, v3, 16                                 // 000000004E08: D2890052 00012103
	s_lshr_b32 s61, s82, 24                                    // 000000004E10: 8F3D9852
	s_and_b32 s82, s82, 0xffffff                               // 000000004E14: 8652FF52 00FFFFFF
	s_mul_i32 s82, s82, s71                                    // 000000004E1C: 92524752
	s_mul_i32 s61, s60, s61                                    // 000000004E20: 923D3D3C
	s_add_u32 s82, s82, s61                                    // 000000004E24: 80523D52
	v_mul_lo_u32 v6, v5, s82                                   // 000000004E28: D2850006 0000A505
	v_readlane_b32 s82, v3, 17                                 // 000000004E30: D2890052 00012303
	s_lshr_b32 s61, s82, 24                                    // 000000004E38: 8F3D9852
	s_and_b32 s82, s82, 0xffffff                               // 000000004E3C: 8652FF52 00FFFFFF
	s_mul_i32 s82, s82, s71                                    // 000000004E44: 92524752
	s_mul_i32 s61, s60, s61                                    // 000000004E48: 923D3D3C
	s_add_u32 s82, s82, s61                                    // 000000004E4C: 80523D52
	v_mul_lo_u32 v7, v4, s82                                   // 000000004E50: D2850007 0000A504
	v_add_u32_e32 v64, v6, v7                                  // 000000004E58: 68800F06
	v_readlane_b32 s82, v3, 18                                 // 000000004E5C: D2890052 00012503
	s_lshr_b32 s61, s82, 24                                    // 000000004E64: 8F3D9852
	s_and_b32 s82, s82, 0xffffff                               // 000000004E68: 8652FF52 00FFFFFF
	s_mul_i32 s82, s82, s71                                    // 000000004E70: 92524752
	s_mul_i32 s61, s60, s61                                    // 000000004E74: 923D3D3C
	s_add_u32 s82, s82, s61                                    // 000000004E78: 80523D52
	v_mul_lo_u32 v6, v5, s82                                   // 000000004E7C: D2850006 0000A505
	v_readlane_b32 s82, v3, 19                                 // 000000004E84: D2890052 00012703
	s_lshr_b32 s61, s82, 24                                    // 000000004E8C: 8F3D9852
	s_and_b32 s82, s82, 0xffffff                               // 000000004E90: 8652FF52 00FFFFFF
	s_mul_i32 s82, s82, s71                                    // 000000004E98: 92524752
	s_mul_i32 s61, s60, s61                                    // 000000004E9C: 923D3D3C
	s_add_u32 s82, s82, s61                                    // 000000004EA0: 80523D52
	v_mul_lo_u32 v7, v4, s82                                   // 000000004EA4: D2850007 0000A504
	v_add_u32_e32 v65, v6, v7                                  // 000000004EAC: 68820F06
	v_readlane_b32 s82, v3, 20                                 // 000000004EB0: D2890052 00012903
	s_lshr_b32 s61, s82, 24                                    // 000000004EB8: 8F3D9852
	s_and_b32 s82, s82, 0xffffff                               // 000000004EBC: 8652FF52 00FFFFFF
	s_mul_i32 s82, s82, s71                                    // 000000004EC4: 92524752
	s_mul_i32 s61, s60, s61                                    // 000000004EC8: 923D3D3C
	s_add_u32 s82, s82, s61                                    // 000000004ECC: 80523D52
	v_mul_lo_u32 v6, v5, s82                                   // 000000004ED0: D2850006 0000A505
	v_readlane_b32 s82, v3, 21                                 // 000000004ED8: D2890052 00012B03
	s_lshr_b32 s61, s82, 24                                    // 000000004EE0: 8F3D9852
	s_and_b32 s82, s82, 0xffffff                               // 000000004EE4: 8652FF52 00FFFFFF
	s_mul_i32 s82, s82, s71                                    // 000000004EEC: 92524752
	s_mul_i32 s61, s60, s61                                    // 000000004EF0: 923D3D3C
	s_add_u32 s82, s82, s61                                    // 000000004EF4: 80523D52
	v_mul_lo_u32 v7, v4, s82                                   // 000000004EF8: D2850007 0000A504
	v_add_u32_e32 v66, v6, v7                                  // 000000004F00: 68840F06
	v_readlane_b32 s82, v3, 22                                 // 000000004F04: D2890052 00012D03
	s_lshr_b32 s61, s82, 24                                    // 000000004F0C: 8F3D9852
	s_and_b32 s82, s82, 0xffffff                               // 000000004F10: 8652FF52 00FFFFFF
	s_mul_i32 s82, s82, s71                                    // 000000004F18: 92524752
	s_mul_i32 s61, s60, s61                                    // 000000004F1C: 923D3D3C
	s_add_u32 s82, s82, s61                                    // 000000004F20: 80523D52
	v_mul_lo_u32 v6, v5, s82                                   // 000000004F24: D2850006 0000A505
	v_readlane_b32 s82, v3, 23                                 // 000000004F2C: D2890052 00012F03
	s_lshr_b32 s61, s82, 24                                    // 000000004F34: 8F3D9852
	s_and_b32 s82, s82, 0xffffff                               // 000000004F38: 8652FF52 00FFFFFF
	s_mul_i32 s82, s82, s71                                    // 000000004F40: 92524752
	s_mul_i32 s61, s60, s61                                    // 000000004F44: 923D3D3C
	s_add_u32 s82, s82, s61                                    // 000000004F48: 80523D52
	v_mul_lo_u32 v7, v4, s82                                   // 000000004F4C: D2850007 0000A504
	v_add_u32_e32 v67, v6, v7                                  // 000000004F54: 68860F06
	v_readlane_b32 s82, v3, 24                                 // 000000004F58: D2890052 00013103
	s_lshr_b32 s61, s82, 24                                    // 000000004F60: 8F3D9852
	s_and_b32 s82, s82, 0xffffff                               // 000000004F64: 8652FF52 00FFFFFF
	s_mul_i32 s82, s82, s71                                    // 000000004F6C: 92524752
	s_mul_i32 s61, s60, s61                                    // 000000004F70: 923D3D3C
	s_add_u32 s82, s82, s61                                    // 000000004F74: 80523D52
	v_mul_lo_u32 v6, v5, s82                                   // 000000004F78: D2850006 0000A505
	v_readlane_b32 s82, v3, 25                                 // 000000004F80: D2890052 00013303
	s_lshr_b32 s61, s82, 24                                    // 000000004F88: 8F3D9852
	s_and_b32 s82, s82, 0xffffff                               // 000000004F8C: 8652FF52 00FFFFFF
	s_mul_i32 s82, s82, s71                                    // 000000004F94: 92524752
	s_mul_i32 s61, s60, s61                                    // 000000004F98: 923D3D3C
	s_add_u32 s82, s82, s61                                    // 000000004F9C: 80523D52
	v_mul_lo_u32 v7, v4, s82                                   // 000000004FA0: D2850007 0000A504
	v_add_u32_e32 v68, v6, v7                                  // 000000004FA8: 68880F06
	v_readlane_b32 s82, v3, 26                                 // 000000004FAC: D2890052 00013503
	s_lshr_b32 s61, s82, 24                                    // 000000004FB4: 8F3D9852
	s_and_b32 s82, s82, 0xffffff                               // 000000004FB8: 8652FF52 00FFFFFF
	s_mul_i32 s82, s82, s71                                    // 000000004FC0: 92524752
	s_mul_i32 s61, s60, s61                                    // 000000004FC4: 923D3D3C
	s_add_u32 s82, s82, s61                                    // 000000004FC8: 80523D52
	v_mul_lo_u32 v6, v5, s82                                   // 000000004FCC: D2850006 0000A505
	v_readlane_b32 s82, v3, 27                                 // 000000004FD4: D2890052 00013703
	s_lshr_b32 s61, s82, 24                                    // 000000004FDC: 8F3D9852
	s_and_b32 s82, s82, 0xffffff                               // 000000004FE0: 8652FF52 00FFFFFF
	s_mul_i32 s82, s82, s71                                    // 000000004FE8: 92524752
	s_mul_i32 s61, s60, s61                                    // 000000004FEC: 923D3D3C
	s_add_u32 s82, s82, s61                                    // 000000004FF0: 80523D52
	v_mul_lo_u32 v7, v4, s82                                   // 000000004FF4: D2850007 0000A504
	v_add_u32_e32 v69, v6, v7                                  // 000000004FFC: 688A0F06
	v_and_b32_e32 v4, 31, v0                                   // 000000005000: 2608009F
	v_lshrrev_b32_e32 v4, 1, v4                                // 000000005004: 20080881
	s_cmp_eq_u32 s88, 0                                        // 000000005008: BF068058
	s_cselect_b32 s61, 2, 4                                    // 00000000500C: 853D8482
	v_mul_lo_u32 v4, v4, s61                                   // 000000005010: D2850004 00007B04
	v_and_b32_e64 v5, v0, 1                                    // 000000005018: D1130005 00010300
	v_add_u32_e32 v4, v4, v5                                   // 000000005020: 68080B04
	v_lshlrev_b32_e32 v4, 2, v4                                // 000000005024: 24080882
	v_add_u32_e32 v56, v56, v4                                 // 000000005028: 68700938
	v_add_u32_e32 v57, v57, v4                                 // 00000000502C: 68720939
	v_add_u32_e32 v58, v58, v4                                 // 000000005030: 6874093A
	v_add_u32_e32 v59, v59, v4                                 // 000000005034: 6876093B
	v_add_u32_e32 v60, v60, v4                                 // 000000005038: 6878093C
	v_add_u32_e32 v61, v61, v4                                 // 00000000503C: 687A093D
	v_add_u32_e32 v62, v62, v4                                 // 000000005040: 687C093E
	v_add_u32_e32 v63, v63, v4                                 // 000000005044: 687E093F
	v_add_u32_e32 v64, v64, v4                                 // 000000005048: 68800940
	v_add_u32_e32 v65, v65, v4                                 // 00000000504C: 68820941
	v_add_u32_e32 v66, v66, v4                                 // 000000005050: 68840942
	v_add_u32_e32 v67, v67, v4                                 // 000000005054: 68860943
	;; [unrolled: 1-line block ×3, first 2 shown]
	v_add_u32_e32 v69, v69, v4                                 // 00000000505C: 688A0945
	s_waitcnt lgkmcnt(0)                                       // 000000005060: BF8CC07F
	s_barrier                                                  // 000000005064: BF8A0000
	ds_read_b32 v72, v21                                       // 000000005068: D86C0000 48000015
	ds_read_b32 v73, v21 offset:64                             // 000000005070: D86C0040 49000015
	ds_read_b32 v74, v21 offset:2176                           // 000000005078: D86C0880 4A000015
	ds_read_b32 v75, v21 offset:2240                           // 000000005080: D86C08C0 4B000015
	ds_read_b32 v76, v21 offset:4352                           // 000000005088: D86C1100 4C000015
	ds_read_b32 v77, v21 offset:4416                           // 000000005090: D86C1140 4D000015
	ds_read_b32 v78, v21 offset:6528                           // 000000005098: D86C1980 4E000015
	ds_read_b32 v79, v21 offset:6592                           // 0000000050A0: D86C19C0 4F000015
	ds_read_b32 v80, v21 offset:8704                           // 0000000050A8: D86C2200 50000015
	ds_read_b32 v81, v21 offset:8768                           // 0000000050B0: D86C2240 51000015
	ds_read_b32 v82, v21 offset:10880                          // 0000000050B8: D86C2A80 52000015
	ds_read_b32 v83, v21 offset:10944                          // 0000000050C0: D86C2AC0 53000015
	ds_read_b32 v84, v21 offset:13056                          // 0000000050C8: D86C3300 54000015
	ds_read_b32 v85, v21 offset:13120                          // 0000000050D0: D86C3340 55000015
	s_waitcnt lgkmcnt(0)                                       // 0000000050D8: BF8CC07F
	s_mov_b32 s36, -1                                          // 0000000050DC: BEA400C1
	s_mov_b32 s37, -1                                          // 0000000050E0: BEA500C1
	v_mov_b32_e32 v7, 0                                        // 0000000050E4: 7E0E0280
	s_or_b32 s9, s9, 0x40000                                   // 0000000050E8: 8709FF09 00040000
	s_mov_b64 exec, s[36:37]                                   // 0000000050F0: BEFE0124
	v_mov_b32_e32 v6, v56                                      // 0000000050F4: 7E0C0338
	s_mov_b64 s[60:61], 0                                      // 0000000050F8: BEBC0180
	v_readlane_b32 s82, v3, 0                                  // 0000000050FC: D2890052 00010103
	s_and_b32 s82, s82, 0xffffff                               // 000000005104: 8652FF52 00FFFFFF
	s_cmp_lt_u32 s82, s66                                      // 00000000510C: BF0A4252
	s_cselect_b32 s20, s36, s60                                // 000000005110: 85143C24
	v_readlane_b32 s82, v3, 1                                  // 000000005114: D2890052 00010303
	s_and_b32 s82, s82, 0xffffff                               // 00000000511C: 8652FF52 00FFFFFF
	s_cmp_lt_u32 s82, s66                                      // 000000005124: BF0A4252
	s_cselect_b32 s21, s36, s60                                // 000000005128: 85153C24
	s_mov_b64 exec, s[20:21]                                   // 00000000512C: BEFE0114
	buffer_store_dword v72, v6, s[8:11], 0 offen               // 000000005130: E0701000 80024806
	s_mov_b64 exec, s[36:37]                                   // 000000005138: BEFE0124
	v_mov_b32_e32 v6, v57                                      // 00000000513C: 7E0C0339
	s_mov_b64 s[60:61], 0                                      // 000000005140: BEBC0180
	v_readlane_b32 s82, v3, 2                                  // 000000005144: D2890052 00010503
	s_and_b32 s82, s82, 0xffffff                               // 00000000514C: 8652FF52 00FFFFFF
	s_cmp_lt_u32 s82, s66                                      // 000000005154: BF0A4252
	s_cselect_b32 s20, s36, s60                                // 000000005158: 85143C24
	v_readlane_b32 s82, v3, 3                                  // 00000000515C: D2890052 00010703
	s_and_b32 s82, s82, 0xffffff                               // 000000005164: 8652FF52 00FFFFFF
	s_cmp_lt_u32 s82, s66                                      // 00000000516C: BF0A4252
	s_cselect_b32 s21, s36, s60                                // 000000005170: 85153C24
	s_mov_b64 exec, s[20:21]                                   // 000000005174: BEFE0114
	buffer_store_dword v73, v6, s[8:11], 0 offen               // 000000005178: E0701000 80024906
	s_mov_b64 exec, s[36:37]                                   // 000000005180: BEFE0124
	v_mov_b32_e32 v6, v58                                      // 000000005184: 7E0C033A
	s_mov_b64 s[60:61], 0                                      // 000000005188: BEBC0180
	v_readlane_b32 s82, v3, 4                                  // 00000000518C: D2890052 00010903
	s_and_b32 s82, s82, 0xffffff                               // 000000005194: 8652FF52 00FFFFFF
	s_cmp_lt_u32 s82, s66                                      // 00000000519C: BF0A4252
	s_cselect_b32 s20, s36, s60                                // 0000000051A0: 85143C24
	v_readlane_b32 s82, v3, 5                                  // 0000000051A4: D2890052 00010B03
	s_and_b32 s82, s82, 0xffffff                               // 0000000051AC: 8652FF52 00FFFFFF
	s_cmp_lt_u32 s82, s66                                      // 0000000051B4: BF0A4252
	s_cselect_b32 s21, s36, s60                                // 0000000051B8: 85153C24
	s_mov_b64 exec, s[20:21]                                   // 0000000051BC: BEFE0114
	buffer_store_dword v74, v6, s[8:11], 0 offen               // 0000000051C0: E0701000 80024A06
	s_mov_b64 exec, s[36:37]                                   // 0000000051C8: BEFE0124
	v_mov_b32_e32 v6, v59                                      // 0000000051CC: 7E0C033B
	s_mov_b64 s[60:61], 0                                      // 0000000051D0: BEBC0180
	v_readlane_b32 s82, v3, 6                                  // 0000000051D4: D2890052 00010D03
	s_and_b32 s82, s82, 0xffffff                               // 0000000051DC: 8652FF52 00FFFFFF
	s_cmp_lt_u32 s82, s66                                      // 0000000051E4: BF0A4252
	s_cselect_b32 s20, s36, s60                                // 0000000051E8: 85143C24
	v_readlane_b32 s82, v3, 7                                  // 0000000051EC: D2890052 00010F03
	s_and_b32 s82, s82, 0xffffff                               // 0000000051F4: 8652FF52 00FFFFFF
	s_cmp_lt_u32 s82, s66                                      // 0000000051FC: BF0A4252
	s_cselect_b32 s21, s36, s60                                // 000000005200: 85153C24
	s_mov_b64 exec, s[20:21]                                   // 000000005204: BEFE0114
	buffer_store_dword v75, v6, s[8:11], 0 offen               // 000000005208: E0701000 80024B06
	s_mov_b64 exec, s[36:37]                                   // 000000005210: BEFE0124
	v_mov_b32_e32 v6, v60                                      // 000000005214: 7E0C033C
	s_mov_b64 s[60:61], 0                                      // 000000005218: BEBC0180
	v_readlane_b32 s82, v3, 8                                  // 00000000521C: D2890052 00011103
	s_and_b32 s82, s82, 0xffffff                               // 000000005224: 8652FF52 00FFFFFF
	s_cmp_lt_u32 s82, s66                                      // 00000000522C: BF0A4252
	s_cselect_b32 s20, s36, s60                                // 000000005230: 85143C24
	v_readlane_b32 s82, v3, 9                                  // 000000005234: D2890052 00011303
	s_and_b32 s82, s82, 0xffffff                               // 00000000523C: 8652FF52 00FFFFFF
	s_cmp_lt_u32 s82, s66                                      // 000000005244: BF0A4252
	s_cselect_b32 s21, s36, s60                                // 000000005248: 85153C24
	s_mov_b64 exec, s[20:21]                                   // 00000000524C: BEFE0114
	buffer_store_dword v76, v6, s[8:11], 0 offen               // 000000005250: E0701000 80024C06
	s_mov_b64 exec, s[36:37]                                   // 000000005258: BEFE0124
	v_mov_b32_e32 v6, v61                                      // 00000000525C: 7E0C033D
	s_mov_b64 s[60:61], 0                                      // 000000005260: BEBC0180
	v_readlane_b32 s82, v3, 10                                 // 000000005264: D2890052 00011503
	s_and_b32 s82, s82, 0xffffff                               // 00000000526C: 8652FF52 00FFFFFF
	s_cmp_lt_u32 s82, s66                                      // 000000005274: BF0A4252
	s_cselect_b32 s20, s36, s60                                // 000000005278: 85143C24
	v_readlane_b32 s82, v3, 11                                 // 00000000527C: D2890052 00011703
	s_and_b32 s82, s82, 0xffffff                               // 000000005284: 8652FF52 00FFFFFF
	s_cmp_lt_u32 s82, s66                                      // 00000000528C: BF0A4252
	s_cselect_b32 s21, s36, s60                                // 000000005290: 85153C24
	s_mov_b64 exec, s[20:21]                                   // 000000005294: BEFE0114
	buffer_store_dword v77, v6, s[8:11], 0 offen               // 000000005298: E0701000 80024D06
	s_mov_b64 exec, s[36:37]                                   // 0000000052A0: BEFE0124
	v_mov_b32_e32 v6, v62                                      // 0000000052A4: 7E0C033E
	s_mov_b64 s[60:61], 0                                      // 0000000052A8: BEBC0180
	v_readlane_b32 s82, v3, 12                                 // 0000000052AC: D2890052 00011903
	s_and_b32 s82, s82, 0xffffff                               // 0000000052B4: 8652FF52 00FFFFFF
	s_cmp_lt_u32 s82, s66                                      // 0000000052BC: BF0A4252
	s_cselect_b32 s20, s36, s60                                // 0000000052C0: 85143C24
	v_readlane_b32 s82, v3, 13                                 // 0000000052C4: D2890052 00011B03
	s_and_b32 s82, s82, 0xffffff                               // 0000000052CC: 8652FF52 00FFFFFF
	s_cmp_lt_u32 s82, s66                                      // 0000000052D4: BF0A4252
	s_cselect_b32 s21, s36, s60                                // 0000000052D8: 85153C24
	s_mov_b64 exec, s[20:21]                                   // 0000000052DC: BEFE0114
	buffer_store_dword v78, v6, s[8:11], 0 offen               // 0000000052E0: E0701000 80024E06
	s_mov_b64 exec, s[36:37]                                   // 0000000052E8: BEFE0124
	v_mov_b32_e32 v6, v63                                      // 0000000052EC: 7E0C033F
	s_mov_b64 s[60:61], 0                                      // 0000000052F0: BEBC0180
	v_readlane_b32 s82, v3, 14                                 // 0000000052F4: D2890052 00011D03
	s_and_b32 s82, s82, 0xffffff                               // 0000000052FC: 8652FF52 00FFFFFF
	s_cmp_lt_u32 s82, s66                                      // 000000005304: BF0A4252
	s_cselect_b32 s20, s36, s60                                // 000000005308: 85143C24
	v_readlane_b32 s82, v3, 15                                 // 00000000530C: D2890052 00011F03
	s_and_b32 s82, s82, 0xffffff                               // 000000005314: 8652FF52 00FFFFFF
	s_cmp_lt_u32 s82, s66                                      // 00000000531C: BF0A4252
	s_cselect_b32 s21, s36, s60                                // 000000005320: 85153C24
	s_mov_b64 exec, s[20:21]                                   // 000000005324: BEFE0114
	buffer_store_dword v79, v6, s[8:11], 0 offen               // 000000005328: E0701000 80024F06
	s_mov_b64 exec, s[36:37]                                   // 000000005330: BEFE0124
	v_mov_b32_e32 v6, v64                                      // 000000005334: 7E0C0340
	s_mov_b64 s[60:61], 0                                      // 000000005338: BEBC0180
	v_readlane_b32 s82, v3, 16                                 // 00000000533C: D2890052 00012103
	s_and_b32 s82, s82, 0xffffff                               // 000000005344: 8652FF52 00FFFFFF
	s_cmp_lt_u32 s82, s66                                      // 00000000534C: BF0A4252
	s_cselect_b32 s20, s36, s60                                // 000000005350: 85143C24
	v_readlane_b32 s82, v3, 17                                 // 000000005354: D2890052 00012303
	s_and_b32 s82, s82, 0xffffff                               // 00000000535C: 8652FF52 00FFFFFF
	s_cmp_lt_u32 s82, s66                                      // 000000005364: BF0A4252
	s_cselect_b32 s21, s36, s60                                // 000000005368: 85153C24
	s_mov_b64 exec, s[20:21]                                   // 00000000536C: BEFE0114
	buffer_store_dword v80, v6, s[8:11], 0 offen               // 000000005370: E0701000 80025006
	s_mov_b64 exec, s[36:37]                                   // 000000005378: BEFE0124
	v_mov_b32_e32 v6, v65                                      // 00000000537C: 7E0C0341
	s_mov_b64 s[60:61], 0                                      // 000000005380: BEBC0180
	v_readlane_b32 s82, v3, 18                                 // 000000005384: D2890052 00012503
	s_and_b32 s82, s82, 0xffffff                               // 00000000538C: 8652FF52 00FFFFFF
	s_cmp_lt_u32 s82, s66                                      // 000000005394: BF0A4252
	s_cselect_b32 s20, s36, s60                                // 000000005398: 85143C24
	v_readlane_b32 s82, v3, 19                                 // 00000000539C: D2890052 00012703
	s_and_b32 s82, s82, 0xffffff                               // 0000000053A4: 8652FF52 00FFFFFF
	s_cmp_lt_u32 s82, s66                                      // 0000000053AC: BF0A4252
	s_cselect_b32 s21, s36, s60                                // 0000000053B0: 85153C24
	s_mov_b64 exec, s[20:21]                                   // 0000000053B4: BEFE0114
	buffer_store_dword v81, v6, s[8:11], 0 offen               // 0000000053B8: E0701000 80025106
	s_mov_b64 exec, s[36:37]                                   // 0000000053C0: BEFE0124
	v_mov_b32_e32 v6, v66                                      // 0000000053C4: 7E0C0342
	s_mov_b64 s[60:61], 0                                      // 0000000053C8: BEBC0180
	v_readlane_b32 s82, v3, 20                                 // 0000000053CC: D2890052 00012903
	s_and_b32 s82, s82, 0xffffff                               // 0000000053D4: 8652FF52 00FFFFFF
	s_cmp_lt_u32 s82, s66                                      // 0000000053DC: BF0A4252
	s_cselect_b32 s20, s36, s60                                // 0000000053E0: 85143C24
	v_readlane_b32 s82, v3, 21                                 // 0000000053E4: D2890052 00012B03
	s_and_b32 s82, s82, 0xffffff                               // 0000000053EC: 8652FF52 00FFFFFF
	s_cmp_lt_u32 s82, s66                                      // 0000000053F4: BF0A4252
	s_cselect_b32 s21, s36, s60                                // 0000000053F8: 85153C24
	s_mov_b64 exec, s[20:21]                                   // 0000000053FC: BEFE0114
	buffer_store_dword v82, v6, s[8:11], 0 offen               // 000000005400: E0701000 80025206
	s_mov_b64 exec, s[36:37]                                   // 000000005408: BEFE0124
	v_mov_b32_e32 v6, v67                                      // 00000000540C: 7E0C0343
	s_mov_b64 s[60:61], 0                                      // 000000005410: BEBC0180
	v_readlane_b32 s82, v3, 22                                 // 000000005414: D2890052 00012D03
	s_and_b32 s82, s82, 0xffffff                               // 00000000541C: 8652FF52 00FFFFFF
	s_cmp_lt_u32 s82, s66                                      // 000000005424: BF0A4252
	s_cselect_b32 s20, s36, s60                                // 000000005428: 85143C24
	v_readlane_b32 s82, v3, 23                                 // 00000000542C: D2890052 00012F03
	s_and_b32 s82, s82, 0xffffff                               // 000000005434: 8652FF52 00FFFFFF
	s_cmp_lt_u32 s82, s66                                      // 00000000543C: BF0A4252
	s_cselect_b32 s21, s36, s60                                // 000000005440: 85153C24
	s_mov_b64 exec, s[20:21]                                   // 000000005444: BEFE0114
	buffer_store_dword v83, v6, s[8:11], 0 offen               // 000000005448: E0701000 80025306
	s_mov_b64 exec, s[36:37]                                   // 000000005450: BEFE0124
	v_mov_b32_e32 v6, v68                                      // 000000005454: 7E0C0344
	s_mov_b64 s[60:61], 0                                      // 000000005458: BEBC0180
	v_readlane_b32 s82, v3, 24                                 // 00000000545C: D2890052 00013103
	s_and_b32 s82, s82, 0xffffff                               // 000000005464: 8652FF52 00FFFFFF
	s_cmp_lt_u32 s82, s66                                      // 00000000546C: BF0A4252
	s_cselect_b32 s20, s36, s60                                // 000000005470: 85143C24
	v_readlane_b32 s82, v3, 25                                 // 000000005474: D2890052 00013303
	s_and_b32 s82, s82, 0xffffff                               // 00000000547C: 8652FF52 00FFFFFF
	s_cmp_lt_u32 s82, s66                                      // 000000005484: BF0A4252
	s_cselect_b32 s21, s36, s60                                // 000000005488: 85153C24
	s_mov_b64 exec, s[20:21]                                   // 00000000548C: BEFE0114
	buffer_store_dword v84, v6, s[8:11], 0 offen               // 000000005490: E0701000 80025406
	s_mov_b64 exec, s[36:37]                                   // 000000005498: BEFE0124
	v_mov_b32_e32 v6, v69                                      // 00000000549C: 7E0C0345
	s_mov_b64 s[60:61], 0                                      // 0000000054A0: BEBC0180
	v_readlane_b32 s82, v3, 26                                 // 0000000054A4: D2890052 00013503
	s_and_b32 s82, s82, 0xffffff                               // 0000000054AC: 8652FF52 00FFFFFF
	s_cmp_lt_u32 s82, s66                                      // 0000000054B4: BF0A4252
	s_cselect_b32 s20, s36, s60                                // 0000000054B8: 85143C24
	v_readlane_b32 s82, v3, 27                                 // 0000000054BC: D2890052 00013703
	s_and_b32 s82, s82, 0xffffff                               // 0000000054C4: 8652FF52 00FFFFFF
	s_cmp_lt_u32 s82, s66                                      // 0000000054CC: BF0A4252
	s_cselect_b32 s21, s36, s60                                // 0000000054D0: 85153C24
	s_mov_b64 exec, s[20:21]                                   // 0000000054D4: BEFE0114
	buffer_store_dword v85, v6, s[8:11], 0 offen               // 0000000054D8: E0701000 80025506
	s_mov_b64 exec, s[36:37]                                   // 0000000054E0: BEFE0124
	s_branch label_1E5F                                        // 0000000054E4: BF8213A2

00000000000054e8 <label_0ABA>:
	ds_write_b64 v20, v[72:73]                                 // 0000000054E8: D89A0000 00004814
	ds_write_b64 v20, v[76:77] offset:2176                     // 0000000054F0: D89A0880 00004C14
	ds_write_b64 v20, v[80:81] offset:4352                     // 0000000054F8: D89A1100 00005014
	ds_write_b64 v20, v[84:85] offset:6528                     // 000000005500: D89A1980 00005414
	ds_write_b64 v20, v[88:89] offset:8704                     // 000000005508: D89A2200 00005814
	ds_write_b64 v20, v[92:93] offset:10880                    // 000000005510: D89A2A80 00005C14
	ds_write_b64 v20, v[96:97] offset:13056                    // 000000005518: D89A3300 00006014
	v_lshrrev_b32_e32 v4, 5, v0                                // 000000005520: 20080085
	v_xor_b32_e32 v5, 1, v4                                    // 000000005524: 2A0A0881
	s_mul_i32 s60, s65, 2                                      // 000000005528: 923C8241
	s_cmp_eq_u32 s88, 0                                        // 00000000552C: BF068058
	s_cselect_b32 s61, 1, 4                                    // 000000005530: 853D8481
	s_mul_i32 s60, s61, s60                                    // 000000005534: 923C3C3D
	v_readlane_b32 s82, v3, 0                                  // 000000005538: D2890052 00010103
	s_lshr_b32 s61, s82, 24                                    // 000000005540: 8F3D9852
	s_and_b32 s82, s82, 0xffffff                               // 000000005544: 8652FF52 00FFFFFF
	s_mul_i32 s82, s82, s71                                    // 00000000554C: 92524752
	s_mul_i32 s61, s60, s61                                    // 000000005550: 923D3D3C
	s_add_u32 s82, s82, s61                                    // 000000005554: 80523D52
	v_mul_lo_u32 v6, v5, s82                                   // 000000005558: D2850006 0000A505
	v_readlane_b32 s82, v3, 1                                  // 000000005560: D2890052 00010303
	s_lshr_b32 s61, s82, 24                                    // 000000005568: 8F3D9852
	s_and_b32 s82, s82, 0xffffff                               // 00000000556C: 8652FF52 00FFFFFF
	s_mul_i32 s82, s82, s71                                    // 000000005574: 92524752
	s_mul_i32 s61, s60, s61                                    // 000000005578: 923D3D3C
	s_add_u32 s82, s82, s61                                    // 00000000557C: 80523D52
	v_mul_lo_u32 v7, v4, s82                                   // 000000005580: D2850007 0000A504
	v_add_u32_e32 v56, v6, v7                                  // 000000005588: 68700F06
	v_readlane_b32 s82, v3, 2                                  // 00000000558C: D2890052 00010503
	s_lshr_b32 s61, s82, 24                                    // 000000005594: 8F3D9852
	s_and_b32 s82, s82, 0xffffff                               // 000000005598: 8652FF52 00FFFFFF
	s_mul_i32 s82, s82, s71                                    // 0000000055A0: 92524752
	s_mul_i32 s61, s60, s61                                    // 0000000055A4: 923D3D3C
	s_add_u32 s82, s82, s61                                    // 0000000055A8: 80523D52
	v_mul_lo_u32 v6, v5, s82                                   // 0000000055AC: D2850006 0000A505
	v_readlane_b32 s82, v3, 3                                  // 0000000055B4: D2890052 00010703
	s_lshr_b32 s61, s82, 24                                    // 0000000055BC: 8F3D9852
	s_and_b32 s82, s82, 0xffffff                               // 0000000055C0: 8652FF52 00FFFFFF
	s_mul_i32 s82, s82, s71                                    // 0000000055C8: 92524752
	s_mul_i32 s61, s60, s61                                    // 0000000055CC: 923D3D3C
	s_add_u32 s82, s82, s61                                    // 0000000055D0: 80523D52
	v_mul_lo_u32 v7, v4, s82                                   // 0000000055D4: D2850007 0000A504
	v_add_u32_e32 v57, v6, v7                                  // 0000000055DC: 68720F06
	v_readlane_b32 s82, v3, 4                                  // 0000000055E0: D2890052 00010903
	s_lshr_b32 s61, s82, 24                                    // 0000000055E8: 8F3D9852
	s_and_b32 s82, s82, 0xffffff                               // 0000000055EC: 8652FF52 00FFFFFF
	s_mul_i32 s82, s82, s71                                    // 0000000055F4: 92524752
	s_mul_i32 s61, s60, s61                                    // 0000000055F8: 923D3D3C
	s_add_u32 s82, s82, s61                                    // 0000000055FC: 80523D52
	v_mul_lo_u32 v6, v5, s82                                   // 000000005600: D2850006 0000A505
	v_readlane_b32 s82, v3, 5                                  // 000000005608: D2890052 00010B03
	s_lshr_b32 s61, s82, 24                                    // 000000005610: 8F3D9852
	s_and_b32 s82, s82, 0xffffff                               // 000000005614: 8652FF52 00FFFFFF
	s_mul_i32 s82, s82, s71                                    // 00000000561C: 92524752
	s_mul_i32 s61, s60, s61                                    // 000000005620: 923D3D3C
	s_add_u32 s82, s82, s61                                    // 000000005624: 80523D52
	v_mul_lo_u32 v7, v4, s82                                   // 000000005628: D2850007 0000A504
	v_add_u32_e32 v58, v6, v7                                  // 000000005630: 68740F06
	v_readlane_b32 s82, v3, 6                                  // 000000005634: D2890052 00010D03
	s_lshr_b32 s61, s82, 24                                    // 00000000563C: 8F3D9852
	s_and_b32 s82, s82, 0xffffff                               // 000000005640: 8652FF52 00FFFFFF
	s_mul_i32 s82, s82, s71                                    // 000000005648: 92524752
	s_mul_i32 s61, s60, s61                                    // 00000000564C: 923D3D3C
	s_add_u32 s82, s82, s61                                    // 000000005650: 80523D52
	v_mul_lo_u32 v6, v5, s82                                   // 000000005654: D2850006 0000A505
	v_readlane_b32 s82, v3, 7                                  // 00000000565C: D2890052 00010F03
	s_lshr_b32 s61, s82, 24                                    // 000000005664: 8F3D9852
	s_and_b32 s82, s82, 0xffffff                               // 000000005668: 8652FF52 00FFFFFF
	s_mul_i32 s82, s82, s71                                    // 000000005670: 92524752
	s_mul_i32 s61, s60, s61                                    // 000000005674: 923D3D3C
	s_add_u32 s82, s82, s61                                    // 000000005678: 80523D52
	v_mul_lo_u32 v7, v4, s82                                   // 00000000567C: D2850007 0000A504
	v_add_u32_e32 v59, v6, v7                                  // 000000005684: 68760F06
	v_readlane_b32 s82, v3, 8                                  // 000000005688: D2890052 00011103
	s_lshr_b32 s61, s82, 24                                    // 000000005690: 8F3D9852
	s_and_b32 s82, s82, 0xffffff                               // 000000005694: 8652FF52 00FFFFFF
	s_mul_i32 s82, s82, s71                                    // 00000000569C: 92524752
	s_mul_i32 s61, s60, s61                                    // 0000000056A0: 923D3D3C
	s_add_u32 s82, s82, s61                                    // 0000000056A4: 80523D52
	v_mul_lo_u32 v6, v5, s82                                   // 0000000056A8: D2850006 0000A505
	v_readlane_b32 s82, v3, 9                                  // 0000000056B0: D2890052 00011303
	s_lshr_b32 s61, s82, 24                                    // 0000000056B8: 8F3D9852
	s_and_b32 s82, s82, 0xffffff                               // 0000000056BC: 8652FF52 00FFFFFF
	s_mul_i32 s82, s82, s71                                    // 0000000056C4: 92524752
	s_mul_i32 s61, s60, s61                                    // 0000000056C8: 923D3D3C
	s_add_u32 s82, s82, s61                                    // 0000000056CC: 80523D52
	v_mul_lo_u32 v7, v4, s82                                   // 0000000056D0: D2850007 0000A504
	v_add_u32_e32 v60, v6, v7                                  // 0000000056D8: 68780F06
	v_readlane_b32 s82, v3, 10                                 // 0000000056DC: D2890052 00011503
	s_lshr_b32 s61, s82, 24                                    // 0000000056E4: 8F3D9852
	s_and_b32 s82, s82, 0xffffff                               // 0000000056E8: 8652FF52 00FFFFFF
	s_mul_i32 s82, s82, s71                                    // 0000000056F0: 92524752
	s_mul_i32 s61, s60, s61                                    // 0000000056F4: 923D3D3C
	s_add_u32 s82, s82, s61                                    // 0000000056F8: 80523D52
	v_mul_lo_u32 v6, v5, s82                                   // 0000000056FC: D2850006 0000A505
	v_readlane_b32 s82, v3, 11                                 // 000000005704: D2890052 00011703
	s_lshr_b32 s61, s82, 24                                    // 00000000570C: 8F3D9852
	s_and_b32 s82, s82, 0xffffff                               // 000000005710: 8652FF52 00FFFFFF
	s_mul_i32 s82, s82, s71                                    // 000000005718: 92524752
	s_mul_i32 s61, s60, s61                                    // 00000000571C: 923D3D3C
	s_add_u32 s82, s82, s61                                    // 000000005720: 80523D52
	v_mul_lo_u32 v7, v4, s82                                   // 000000005724: D2850007 0000A504
	v_add_u32_e32 v61, v6, v7                                  // 00000000572C: 687A0F06
	v_readlane_b32 s82, v3, 12                                 // 000000005730: D2890052 00011903
	s_lshr_b32 s61, s82, 24                                    // 000000005738: 8F3D9852
	s_and_b32 s82, s82, 0xffffff                               // 00000000573C: 8652FF52 00FFFFFF
	s_mul_i32 s82, s82, s71                                    // 000000005744: 92524752
	s_mul_i32 s61, s60, s61                                    // 000000005748: 923D3D3C
	s_add_u32 s82, s82, s61                                    // 00000000574C: 80523D52
	v_mul_lo_u32 v6, v5, s82                                   // 000000005750: D2850006 0000A505
	v_readlane_b32 s82, v3, 13                                 // 000000005758: D2890052 00011B03
	s_lshr_b32 s61, s82, 24                                    // 000000005760: 8F3D9852
	s_and_b32 s82, s82, 0xffffff                               // 000000005764: 8652FF52 00FFFFFF
	s_mul_i32 s82, s82, s71                                    // 00000000576C: 92524752
	s_mul_i32 s61, s60, s61                                    // 000000005770: 923D3D3C
	s_add_u32 s82, s82, s61                                    // 000000005774: 80523D52
	v_mul_lo_u32 v7, v4, s82                                   // 000000005778: D2850007 0000A504
	v_add_u32_e32 v62, v6, v7                                  // 000000005780: 687C0F06
	v_readlane_b32 s82, v3, 14                                 // 000000005784: D2890052 00011D03
	s_lshr_b32 s61, s82, 24                                    // 00000000578C: 8F3D9852
	s_and_b32 s82, s82, 0xffffff                               // 000000005790: 8652FF52 00FFFFFF
	s_mul_i32 s82, s82, s71                                    // 000000005798: 92524752
	s_mul_i32 s61, s60, s61                                    // 00000000579C: 923D3D3C
	s_add_u32 s82, s82, s61                                    // 0000000057A0: 80523D52
	v_mul_lo_u32 v6, v5, s82                                   // 0000000057A4: D2850006 0000A505
	v_readlane_b32 s82, v3, 15                                 // 0000000057AC: D2890052 00011F03
	s_lshr_b32 s61, s82, 24                                    // 0000000057B4: 8F3D9852
	s_and_b32 s82, s82, 0xffffff                               // 0000000057B8: 8652FF52 00FFFFFF
	s_mul_i32 s82, s82, s71                                    // 0000000057C0: 92524752
	s_mul_i32 s61, s60, s61                                    // 0000000057C4: 923D3D3C
	s_add_u32 s82, s82, s61                                    // 0000000057C8: 80523D52
	v_mul_lo_u32 v7, v4, s82                                   // 0000000057CC: D2850007 0000A504
	v_add_u32_e32 v63, v6, v7                                  // 0000000057D4: 687E0F06
	v_readlane_b32 s82, v3, 16                                 // 0000000057D8: D2890052 00012103
	s_lshr_b32 s61, s82, 24                                    // 0000000057E0: 8F3D9852
	s_and_b32 s82, s82, 0xffffff                               // 0000000057E4: 8652FF52 00FFFFFF
	s_mul_i32 s82, s82, s71                                    // 0000000057EC: 92524752
	s_mul_i32 s61, s60, s61                                    // 0000000057F0: 923D3D3C
	s_add_u32 s82, s82, s61                                    // 0000000057F4: 80523D52
	v_mul_lo_u32 v6, v5, s82                                   // 0000000057F8: D2850006 0000A505
	v_readlane_b32 s82, v3, 17                                 // 000000005800: D2890052 00012303
	s_lshr_b32 s61, s82, 24                                    // 000000005808: 8F3D9852
	s_and_b32 s82, s82, 0xffffff                               // 00000000580C: 8652FF52 00FFFFFF
	s_mul_i32 s82, s82, s71                                    // 000000005814: 92524752
	s_mul_i32 s61, s60, s61                                    // 000000005818: 923D3D3C
	s_add_u32 s82, s82, s61                                    // 00000000581C: 80523D52
	v_mul_lo_u32 v7, v4, s82                                   // 000000005820: D2850007 0000A504
	v_add_u32_e32 v64, v6, v7                                  // 000000005828: 68800F06
	v_readlane_b32 s82, v3, 18                                 // 00000000582C: D2890052 00012503
	s_lshr_b32 s61, s82, 24                                    // 000000005834: 8F3D9852
	s_and_b32 s82, s82, 0xffffff                               // 000000005838: 8652FF52 00FFFFFF
	s_mul_i32 s82, s82, s71                                    // 000000005840: 92524752
	s_mul_i32 s61, s60, s61                                    // 000000005844: 923D3D3C
	s_add_u32 s82, s82, s61                                    // 000000005848: 80523D52
	v_mul_lo_u32 v6, v5, s82                                   // 00000000584C: D2850006 0000A505
	v_readlane_b32 s82, v3, 19                                 // 000000005854: D2890052 00012703
	s_lshr_b32 s61, s82, 24                                    // 00000000585C: 8F3D9852
	s_and_b32 s82, s82, 0xffffff                               // 000000005860: 8652FF52 00FFFFFF
	s_mul_i32 s82, s82, s71                                    // 000000005868: 92524752
	s_mul_i32 s61, s60, s61                                    // 00000000586C: 923D3D3C
	s_add_u32 s82, s82, s61                                    // 000000005870: 80523D52
	v_mul_lo_u32 v7, v4, s82                                   // 000000005874: D2850007 0000A504
	v_add_u32_e32 v65, v6, v7                                  // 00000000587C: 68820F06
	v_readlane_b32 s82, v3, 20                                 // 000000005880: D2890052 00012903
	s_lshr_b32 s61, s82, 24                                    // 000000005888: 8F3D9852
	s_and_b32 s82, s82, 0xffffff                               // 00000000588C: 8652FF52 00FFFFFF
	s_mul_i32 s82, s82, s71                                    // 000000005894: 92524752
	s_mul_i32 s61, s60, s61                                    // 000000005898: 923D3D3C
	s_add_u32 s82, s82, s61                                    // 00000000589C: 80523D52
	v_mul_lo_u32 v6, v5, s82                                   // 0000000058A0: D2850006 0000A505
	v_readlane_b32 s82, v3, 21                                 // 0000000058A8: D2890052 00012B03
	s_lshr_b32 s61, s82, 24                                    // 0000000058B0: 8F3D9852
	s_and_b32 s82, s82, 0xffffff                               // 0000000058B4: 8652FF52 00FFFFFF
	s_mul_i32 s82, s82, s71                                    // 0000000058BC: 92524752
	s_mul_i32 s61, s60, s61                                    // 0000000058C0: 923D3D3C
	s_add_u32 s82, s82, s61                                    // 0000000058C4: 80523D52
	v_mul_lo_u32 v7, v4, s82                                   // 0000000058C8: D2850007 0000A504
	v_add_u32_e32 v66, v6, v7                                  // 0000000058D0: 68840F06
	v_readlane_b32 s82, v3, 22                                 // 0000000058D4: D2890052 00012D03
	s_lshr_b32 s61, s82, 24                                    // 0000000058DC: 8F3D9852
	s_and_b32 s82, s82, 0xffffff                               // 0000000058E0: 8652FF52 00FFFFFF
	s_mul_i32 s82, s82, s71                                    // 0000000058E8: 92524752
	s_mul_i32 s61, s60, s61                                    // 0000000058EC: 923D3D3C
	s_add_u32 s82, s82, s61                                    // 0000000058F0: 80523D52
	v_mul_lo_u32 v6, v5, s82                                   // 0000000058F4: D2850006 0000A505
	v_readlane_b32 s82, v3, 23                                 // 0000000058FC: D2890052 00012F03
	s_lshr_b32 s61, s82, 24                                    // 000000005904: 8F3D9852
	s_and_b32 s82, s82, 0xffffff                               // 000000005908: 8652FF52 00FFFFFF
	s_mul_i32 s82, s82, s71                                    // 000000005910: 92524752
	s_mul_i32 s61, s60, s61                                    // 000000005914: 923D3D3C
	s_add_u32 s82, s82, s61                                    // 000000005918: 80523D52
	v_mul_lo_u32 v7, v4, s82                                   // 00000000591C: D2850007 0000A504
	v_add_u32_e32 v67, v6, v7                                  // 000000005924: 68860F06
	v_readlane_b32 s82, v3, 24                                 // 000000005928: D2890052 00013103
	s_lshr_b32 s61, s82, 24                                    // 000000005930: 8F3D9852
	s_and_b32 s82, s82, 0xffffff                               // 000000005934: 8652FF52 00FFFFFF
	s_mul_i32 s82, s82, s71                                    // 00000000593C: 92524752
	s_mul_i32 s61, s60, s61                                    // 000000005940: 923D3D3C
	s_add_u32 s82, s82, s61                                    // 000000005944: 80523D52
	v_mul_lo_u32 v6, v5, s82                                   // 000000005948: D2850006 0000A505
	v_readlane_b32 s82, v3, 25                                 // 000000005950: D2890052 00013303
	s_lshr_b32 s61, s82, 24                                    // 000000005958: 8F3D9852
	s_and_b32 s82, s82, 0xffffff                               // 00000000595C: 8652FF52 00FFFFFF
	s_mul_i32 s82, s82, s71                                    // 000000005964: 92524752
	s_mul_i32 s61, s60, s61                                    // 000000005968: 923D3D3C
	s_add_u32 s82, s82, s61                                    // 00000000596C: 80523D52
	v_mul_lo_u32 v7, v4, s82                                   // 000000005970: D2850007 0000A504
	v_add_u32_e32 v68, v6, v7                                  // 000000005978: 68880F06
	v_readlane_b32 s82, v3, 26                                 // 00000000597C: D2890052 00013503
	s_lshr_b32 s61, s82, 24                                    // 000000005984: 8F3D9852
	s_and_b32 s82, s82, 0xffffff                               // 000000005988: 8652FF52 00FFFFFF
	s_mul_i32 s82, s82, s71                                    // 000000005990: 92524752
	s_mul_i32 s61, s60, s61                                    // 000000005994: 923D3D3C
	s_add_u32 s82, s82, s61                                    // 000000005998: 80523D52
	v_mul_lo_u32 v6, v5, s82                                   // 00000000599C: D2850006 0000A505
	v_readlane_b32 s82, v3, 27                                 // 0000000059A4: D2890052 00013703
	s_lshr_b32 s61, s82, 24                                    // 0000000059AC: 8F3D9852
	s_and_b32 s82, s82, 0xffffff                               // 0000000059B0: 8652FF52 00FFFFFF
	s_mul_i32 s82, s82, s71                                    // 0000000059B8: 92524752
	s_mul_i32 s61, s60, s61                                    // 0000000059BC: 923D3D3C
	s_add_u32 s82, s82, s61                                    // 0000000059C0: 80523D52
	v_mul_lo_u32 v7, v4, s82                                   // 0000000059C4: D2850007 0000A504
	v_add_u32_e32 v69, v6, v7                                  // 0000000059CC: 688A0F06
	v_and_b32_e32 v4, 31, v0                                   // 0000000059D0: 2608009F
	v_lshrrev_b32_e32 v4, 1, v4                                // 0000000059D4: 20080881
	s_cmp_eq_u32 s88, 0                                        // 0000000059D8: BF068058
	s_cselect_b32 s61, 2, 4                                    // 0000000059DC: 853D8482
	v_mul_lo_u32 v4, v4, s61                                   // 0000000059E0: D2850004 00007B04
	v_and_b32_e64 v5, v0, 1                                    // 0000000059E8: D1130005 00010300
	v_add_u32_e32 v4, v4, v5                                   // 0000000059F0: 68080B04
	v_lshlrev_b32_e32 v4, 2, v4                                // 0000000059F4: 24080882
	v_add_u32_e32 v56, v56, v4                                 // 0000000059F8: 68700938
	v_add_u32_e32 v57, v57, v4                                 // 0000000059FC: 68720939
	v_add_u32_e32 v58, v58, v4                                 // 000000005A00: 6874093A
	v_add_u32_e32 v59, v59, v4                                 // 000000005A04: 6876093B
	v_add_u32_e32 v60, v60, v4                                 // 000000005A08: 6878093C
	v_add_u32_e32 v61, v61, v4                                 // 000000005A0C: 687A093D
	v_add_u32_e32 v62, v62, v4                                 // 000000005A10: 687C093E
	v_add_u32_e32 v63, v63, v4                                 // 000000005A14: 687E093F
	v_add_u32_e32 v64, v64, v4                                 // 000000005A18: 68800940
	v_add_u32_e32 v65, v65, v4                                 // 000000005A1C: 68820941
	v_add_u32_e32 v66, v66, v4                                 // 000000005A20: 68840942
	v_add_u32_e32 v67, v67, v4                                 // 000000005A24: 68860943
	v_add_u32_e32 v68, v68, v4                                 // 000000005A28: 68880944
	v_add_u32_e32 v69, v69, v4                                 // 000000005A2C: 688A0945
	s_waitcnt lgkmcnt(0)                                       // 000000005A30: BF8CC07F
	s_barrier                                                  // 000000005A34: BF8A0000
	ds_read_b32 v72, v21                                       // 000000005A38: D86C0000 48000015
	ds_read_b32 v73, v21 offset:64                             // 000000005A40: D86C0040 49000015
	ds_read_b32 v76, v21 offset:2176                           // 000000005A48: D86C0880 4C000015
	ds_read_b32 v77, v21 offset:2240                           // 000000005A50: D86C08C0 4D000015
	ds_read_b32 v80, v21 offset:4352                           // 000000005A58: D86C1100 50000015
	ds_read_b32 v81, v21 offset:4416                           // 000000005A60: D86C1140 51000015
	ds_read_b32 v84, v21 offset:6528                           // 000000005A68: D86C1980 54000015
	ds_read_b32 v85, v21 offset:6592                           // 000000005A70: D86C19C0 55000015
	ds_read_b32 v88, v21 offset:8704                           // 000000005A78: D86C2200 58000015
	ds_read_b32 v89, v21 offset:8768                           // 000000005A80: D86C2240 59000015
	ds_read_b32 v92, v21 offset:10880                          // 000000005A88: D86C2A80 5C000015
	ds_read_b32 v93, v21 offset:10944                          // 000000005A90: D86C2AC0 5D000015
	ds_read_b32 v96, v21 offset:13056                          // 000000005A98: D86C3300 60000015
	ds_read_b32 v97, v21 offset:13120                          // 000000005AA0: D86C3340 61000015
	s_waitcnt lgkmcnt(0)                                       // 000000005AA8: BF8CC07F
	s_mov_b32 s36, -1                                          // 000000005AAC: BEA400C1
	s_mov_b32 s37, -1                                          // 000000005AB0: BEA500C1
	v_mov_b32_e32 v7, 0                                        // 000000005AB4: 7E0E0280
	s_mov_b64 exec, s[36:37]                                   // 000000005AB8: BEFE0124
	v_mov_b32_e32 v6, v56                                      // 000000005ABC: 7E0C0338
	s_mov_b64 s[60:61], 0                                      // 000000005AC0: BEBC0180
	v_readlane_b32 s82, v3, 0                                  // 000000005AC4: D2890052 00010103
	s_and_b32 s82, s82, 0xffffff                               // 000000005ACC: 8652FF52 00FFFFFF
	s_cmp_lt_u32 s82, s66                                      // 000000005AD4: BF0A4252
	s_cselect_b32 s20, s36, s60                                // 000000005AD8: 85143C24
	v_readlane_b32 s82, v3, 1                                  // 000000005ADC: D2890052 00010303
	s_and_b32 s82, s82, 0xffffff                               // 000000005AE4: 8652FF52 00FFFFFF
	s_cmp_lt_u32 s82, s66                                      // 000000005AEC: BF0A4252
	s_cselect_b32 s21, s36, s60                                // 000000005AF0: 85153C24
	s_mov_b64 exec, s[20:21]                                   // 000000005AF4: BEFE0114
	global_atomic_add_f32 v6, v72, s[8:9]                      // 000000005AF8: DD348000 00084806
	s_mov_b64 exec, s[36:37]                                   // 000000005B00: BEFE0124
	v_mov_b32_e32 v6, v57                                      // 000000005B04: 7E0C0339
	s_mov_b64 s[60:61], 0                                      // 000000005B08: BEBC0180
	v_readlane_b32 s82, v3, 2                                  // 000000005B0C: D2890052 00010503
	s_and_b32 s82, s82, 0xffffff                               // 000000005B14: 8652FF52 00FFFFFF
	s_cmp_lt_u32 s82, s66                                      // 000000005B1C: BF0A4252
	s_cselect_b32 s20, s36, s60                                // 000000005B20: 85143C24
	v_readlane_b32 s82, v3, 3                                  // 000000005B24: D2890052 00010703
	s_and_b32 s82, s82, 0xffffff                               // 000000005B2C: 8652FF52 00FFFFFF
	s_cmp_lt_u32 s82, s66                                      // 000000005B34: BF0A4252
	s_cselect_b32 s21, s36, s60                                // 000000005B38: 85153C24
	s_mov_b64 exec, s[20:21]                                   // 000000005B3C: BEFE0114
	global_atomic_add_f32 v6, v73, s[8:9]                      // 000000005B40: DD348000 00084906
	s_mov_b64 exec, s[36:37]                                   // 000000005B48: BEFE0124
	v_mov_b32_e32 v6, v58                                      // 000000005B4C: 7E0C033A
	s_mov_b64 s[60:61], 0                                      // 000000005B50: BEBC0180
	v_readlane_b32 s82, v3, 4                                  // 000000005B54: D2890052 00010903
	s_and_b32 s82, s82, 0xffffff                               // 000000005B5C: 8652FF52 00FFFFFF
	s_cmp_lt_u32 s82, s66                                      // 000000005B64: BF0A4252
	s_cselect_b32 s20, s36, s60                                // 000000005B68: 85143C24
	v_readlane_b32 s82, v3, 5                                  // 000000005B6C: D2890052 00010B03
	s_and_b32 s82, s82, 0xffffff                               // 000000005B74: 8652FF52 00FFFFFF
	s_cmp_lt_u32 s82, s66                                      // 000000005B7C: BF0A4252
	s_cselect_b32 s21, s36, s60                                // 000000005B80: 85153C24
	s_mov_b64 exec, s[20:21]                                   // 000000005B84: BEFE0114
	global_atomic_add_f32 v6, v76, s[8:9]                      // 000000005B88: DD348000 00084C06
	s_mov_b64 exec, s[36:37]                                   // 000000005B90: BEFE0124
	v_mov_b32_e32 v6, v59                                      // 000000005B94: 7E0C033B
	s_mov_b64 s[60:61], 0                                      // 000000005B98: BEBC0180
	v_readlane_b32 s82, v3, 6                                  // 000000005B9C: D2890052 00010D03
	s_and_b32 s82, s82, 0xffffff                               // 000000005BA4: 8652FF52 00FFFFFF
	s_cmp_lt_u32 s82, s66                                      // 000000005BAC: BF0A4252
	s_cselect_b32 s20, s36, s60                                // 000000005BB0: 85143C24
	v_readlane_b32 s82, v3, 7                                  // 000000005BB4: D2890052 00010F03
	s_and_b32 s82, s82, 0xffffff                               // 000000005BBC: 8652FF52 00FFFFFF
	s_cmp_lt_u32 s82, s66                                      // 000000005BC4: BF0A4252
	s_cselect_b32 s21, s36, s60                                // 000000005BC8: 85153C24
	s_mov_b64 exec, s[20:21]                                   // 000000005BCC: BEFE0114
	global_atomic_add_f32 v6, v77, s[8:9]                      // 000000005BD0: DD348000 00084D06
	s_mov_b64 exec, s[36:37]                                   // 000000005BD8: BEFE0124
	v_mov_b32_e32 v6, v60                                      // 000000005BDC: 7E0C033C
	s_mov_b64 s[60:61], 0                                      // 000000005BE0: BEBC0180
	v_readlane_b32 s82, v3, 8                                  // 000000005BE4: D2890052 00011103
	s_and_b32 s82, s82, 0xffffff                               // 000000005BEC: 8652FF52 00FFFFFF
	s_cmp_lt_u32 s82, s66                                      // 000000005BF4: BF0A4252
	s_cselect_b32 s20, s36, s60                                // 000000005BF8: 85143C24
	v_readlane_b32 s82, v3, 9                                  // 000000005BFC: D2890052 00011303
	s_and_b32 s82, s82, 0xffffff                               // 000000005C04: 8652FF52 00FFFFFF
	s_cmp_lt_u32 s82, s66                                      // 000000005C0C: BF0A4252
	s_cselect_b32 s21, s36, s60                                // 000000005C10: 85153C24
	s_mov_b64 exec, s[20:21]                                   // 000000005C14: BEFE0114
	global_atomic_add_f32 v6, v80, s[8:9]                      // 000000005C18: DD348000 00085006
	s_mov_b64 exec, s[36:37]                                   // 000000005C20: BEFE0124
	v_mov_b32_e32 v6, v61                                      // 000000005C24: 7E0C033D
	s_mov_b64 s[60:61], 0                                      // 000000005C28: BEBC0180
	v_readlane_b32 s82, v3, 10                                 // 000000005C2C: D2890052 00011503
	s_and_b32 s82, s82, 0xffffff                               // 000000005C34: 8652FF52 00FFFFFF
	s_cmp_lt_u32 s82, s66                                      // 000000005C3C: BF0A4252
	s_cselect_b32 s20, s36, s60                                // 000000005C40: 85143C24
	v_readlane_b32 s82, v3, 11                                 // 000000005C44: D2890052 00011703
	s_and_b32 s82, s82, 0xffffff                               // 000000005C4C: 8652FF52 00FFFFFF
	s_cmp_lt_u32 s82, s66                                      // 000000005C54: BF0A4252
	s_cselect_b32 s21, s36, s60                                // 000000005C58: 85153C24
	s_mov_b64 exec, s[20:21]                                   // 000000005C5C: BEFE0114
	global_atomic_add_f32 v6, v81, s[8:9]                      // 000000005C60: DD348000 00085106
	s_mov_b64 exec, s[36:37]                                   // 000000005C68: BEFE0124
	v_mov_b32_e32 v6, v62                                      // 000000005C6C: 7E0C033E
	s_mov_b64 s[60:61], 0                                      // 000000005C70: BEBC0180
	v_readlane_b32 s82, v3, 12                                 // 000000005C74: D2890052 00011903
	s_and_b32 s82, s82, 0xffffff                               // 000000005C7C: 8652FF52 00FFFFFF
	s_cmp_lt_u32 s82, s66                                      // 000000005C84: BF0A4252
	s_cselect_b32 s20, s36, s60                                // 000000005C88: 85143C24
	v_readlane_b32 s82, v3, 13                                 // 000000005C8C: D2890052 00011B03
	s_and_b32 s82, s82, 0xffffff                               // 000000005C94: 8652FF52 00FFFFFF
	s_cmp_lt_u32 s82, s66                                      // 000000005C9C: BF0A4252
	s_cselect_b32 s21, s36, s60                                // 000000005CA0: 85153C24
	s_mov_b64 exec, s[20:21]                                   // 000000005CA4: BEFE0114
	global_atomic_add_f32 v6, v84, s[8:9]                      // 000000005CA8: DD348000 00085406
	s_mov_b64 exec, s[36:37]                                   // 000000005CB0: BEFE0124
	v_mov_b32_e32 v6, v63                                      // 000000005CB4: 7E0C033F
	s_mov_b64 s[60:61], 0                                      // 000000005CB8: BEBC0180
	v_readlane_b32 s82, v3, 14                                 // 000000005CBC: D2890052 00011D03
	s_and_b32 s82, s82, 0xffffff                               // 000000005CC4: 8652FF52 00FFFFFF
	s_cmp_lt_u32 s82, s66                                      // 000000005CCC: BF0A4252
	s_cselect_b32 s20, s36, s60                                // 000000005CD0: 85143C24
	v_readlane_b32 s82, v3, 15                                 // 000000005CD4: D2890052 00011F03
	s_and_b32 s82, s82, 0xffffff                               // 000000005CDC: 8652FF52 00FFFFFF
	s_cmp_lt_u32 s82, s66                                      // 000000005CE4: BF0A4252
	s_cselect_b32 s21, s36, s60                                // 000000005CE8: 85153C24
	s_mov_b64 exec, s[20:21]                                   // 000000005CEC: BEFE0114
	global_atomic_add_f32 v6, v85, s[8:9]                      // 000000005CF0: DD348000 00085506
	s_mov_b64 exec, s[36:37]                                   // 000000005CF8: BEFE0124
	v_mov_b32_e32 v6, v64                                      // 000000005CFC: 7E0C0340
	s_mov_b64 s[60:61], 0                                      // 000000005D00: BEBC0180
	v_readlane_b32 s82, v3, 16                                 // 000000005D04: D2890052 00012103
	s_and_b32 s82, s82, 0xffffff                               // 000000005D0C: 8652FF52 00FFFFFF
	s_cmp_lt_u32 s82, s66                                      // 000000005D14: BF0A4252
	s_cselect_b32 s20, s36, s60                                // 000000005D18: 85143C24
	v_readlane_b32 s82, v3, 17                                 // 000000005D1C: D2890052 00012303
	s_and_b32 s82, s82, 0xffffff                               // 000000005D24: 8652FF52 00FFFFFF
	s_cmp_lt_u32 s82, s66                                      // 000000005D2C: BF0A4252
	s_cselect_b32 s21, s36, s60                                // 000000005D30: 85153C24
	s_mov_b64 exec, s[20:21]                                   // 000000005D34: BEFE0114
	global_atomic_add_f32 v6, v88, s[8:9]                      // 000000005D38: DD348000 00085806
	s_mov_b64 exec, s[36:37]                                   // 000000005D40: BEFE0124
	v_mov_b32_e32 v6, v65                                      // 000000005D44: 7E0C0341
	s_mov_b64 s[60:61], 0                                      // 000000005D48: BEBC0180
	v_readlane_b32 s82, v3, 18                                 // 000000005D4C: D2890052 00012503
	s_and_b32 s82, s82, 0xffffff                               // 000000005D54: 8652FF52 00FFFFFF
	s_cmp_lt_u32 s82, s66                                      // 000000005D5C: BF0A4252
	s_cselect_b32 s20, s36, s60                                // 000000005D60: 85143C24
	v_readlane_b32 s82, v3, 19                                 // 000000005D64: D2890052 00012703
	s_and_b32 s82, s82, 0xffffff                               // 000000005D6C: 8652FF52 00FFFFFF
	s_cmp_lt_u32 s82, s66                                      // 000000005D74: BF0A4252
	s_cselect_b32 s21, s36, s60                                // 000000005D78: 85153C24
	s_mov_b64 exec, s[20:21]                                   // 000000005D7C: BEFE0114
	global_atomic_add_f32 v6, v89, s[8:9]                      // 000000005D80: DD348000 00085906
	s_mov_b64 exec, s[36:37]                                   // 000000005D88: BEFE0124
	v_mov_b32_e32 v6, v66                                      // 000000005D8C: 7E0C0342
	s_mov_b64 s[60:61], 0                                      // 000000005D90: BEBC0180
	v_readlane_b32 s82, v3, 20                                 // 000000005D94: D2890052 00012903
	s_and_b32 s82, s82, 0xffffff                               // 000000005D9C: 8652FF52 00FFFFFF
	s_cmp_lt_u32 s82, s66                                      // 000000005DA4: BF0A4252
	s_cselect_b32 s20, s36, s60                                // 000000005DA8: 85143C24
	v_readlane_b32 s82, v3, 21                                 // 000000005DAC: D2890052 00012B03
	s_and_b32 s82, s82, 0xffffff                               // 000000005DB4: 8652FF52 00FFFFFF
	s_cmp_lt_u32 s82, s66                                      // 000000005DBC: BF0A4252
	s_cselect_b32 s21, s36, s60                                // 000000005DC0: 85153C24
	s_mov_b64 exec, s[20:21]                                   // 000000005DC4: BEFE0114
	global_atomic_add_f32 v6, v92, s[8:9]                      // 000000005DC8: DD348000 00085C06
	s_mov_b64 exec, s[36:37]                                   // 000000005DD0: BEFE0124
	v_mov_b32_e32 v6, v67                                      // 000000005DD4: 7E0C0343
	s_mov_b64 s[60:61], 0                                      // 000000005DD8: BEBC0180
	v_readlane_b32 s82, v3, 22                                 // 000000005DDC: D2890052 00012D03
	s_and_b32 s82, s82, 0xffffff                               // 000000005DE4: 8652FF52 00FFFFFF
	s_cmp_lt_u32 s82, s66                                      // 000000005DEC: BF0A4252
	s_cselect_b32 s20, s36, s60                                // 000000005DF0: 85143C24
	v_readlane_b32 s82, v3, 23                                 // 000000005DF4: D2890052 00012F03
	s_and_b32 s82, s82, 0xffffff                               // 000000005DFC: 8652FF52 00FFFFFF
	s_cmp_lt_u32 s82, s66                                      // 000000005E04: BF0A4252
	s_cselect_b32 s21, s36, s60                                // 000000005E08: 85153C24
	s_mov_b64 exec, s[20:21]                                   // 000000005E0C: BEFE0114
	global_atomic_add_f32 v6, v93, s[8:9]                      // 000000005E10: DD348000 00085D06
	s_mov_b64 exec, s[36:37]                                   // 000000005E18: BEFE0124
	v_mov_b32_e32 v6, v68                                      // 000000005E1C: 7E0C0344
	s_mov_b64 s[60:61], 0                                      // 000000005E20: BEBC0180
	v_readlane_b32 s82, v3, 24                                 // 000000005E24: D2890052 00013103
	s_and_b32 s82, s82, 0xffffff                               // 000000005E2C: 8652FF52 00FFFFFF
	s_cmp_lt_u32 s82, s66                                      // 000000005E34: BF0A4252
	s_cselect_b32 s20, s36, s60                                // 000000005E38: 85143C24
	v_readlane_b32 s82, v3, 25                                 // 000000005E3C: D2890052 00013303
	s_and_b32 s82, s82, 0xffffff                               // 000000005E44: 8652FF52 00FFFFFF
	s_cmp_lt_u32 s82, s66                                      // 000000005E4C: BF0A4252
	s_cselect_b32 s21, s36, s60                                // 000000005E50: 85153C24
	s_mov_b64 exec, s[20:21]                                   // 000000005E54: BEFE0114
	global_atomic_add_f32 v6, v96, s[8:9]                      // 000000005E58: DD348000 00086006
	s_mov_b64 exec, s[36:37]                                   // 000000005E60: BEFE0124
	v_mov_b32_e32 v6, v69                                      // 000000005E64: 7E0C0345
	s_mov_b64 s[60:61], 0                                      // 000000005E68: BEBC0180
	v_readlane_b32 s82, v3, 26                                 // 000000005E6C: D2890052 00013503
	s_and_b32 s82, s82, 0xffffff                               // 000000005E74: 8652FF52 00FFFFFF
	s_cmp_lt_u32 s82, s66                                      // 000000005E7C: BF0A4252
	s_cselect_b32 s20, s36, s60                                // 000000005E80: 85143C24
	v_readlane_b32 s82, v3, 27                                 // 000000005E84: D2890052 00013703
	s_and_b32 s82, s82, 0xffffff                               // 000000005E8C: 8652FF52 00FFFFFF
	s_cmp_lt_u32 s82, s66                                      // 000000005E94: BF0A4252
	s_cselect_b32 s21, s36, s60                                // 000000005E98: 85153C24
	s_mov_b64 exec, s[20:21]                                   // 000000005E9C: BEFE0114
	global_atomic_add_f32 v6, v97, s[8:9]                      // 000000005EA0: DD348000 00086106
	s_mov_b64 exec, s[36:37]                                   // 000000005EA8: BEFE0124
	ds_write_b64 v20, v[74:75]                                 // 000000005EAC: D89A0000 00004A14
	ds_write_b64 v20, v[78:79] offset:2176                     // 000000005EB4: D89A0880 00004E14
	ds_write_b64 v20, v[82:83] offset:4352                     // 000000005EBC: D89A1100 00005214
	ds_write_b64 v20, v[86:87] offset:6528                     // 000000005EC4: D89A1980 00005614
	ds_write_b64 v20, v[90:91] offset:8704                     // 000000005ECC: D89A2200 00005A14
	ds_write_b64 v20, v[94:95] offset:10880                    // 000000005ED4: D89A2A80 00005E14
	ds_write_b64 v20, v[98:99] offset:13056                    // 000000005EDC: D89A3300 00006214
	s_waitcnt lgkmcnt(0)                                       // 000000005EE4: BF8CC07F
	s_barrier                                                  // 000000005EE8: BF8A0000
	ds_read_b32 v74, v21                                       // 000000005EEC: D86C0000 4A000015
	ds_read_b32 v75, v21 offset:64                             // 000000005EF4: D86C0040 4B000015
	ds_read_b32 v78, v21 offset:2176                           // 000000005EFC: D86C0880 4E000015
	ds_read_b32 v79, v21 offset:2240                           // 000000005F04: D86C08C0 4F000015
	ds_read_b32 v82, v21 offset:4352                           // 000000005F0C: D86C1100 52000015
	ds_read_b32 v83, v21 offset:4416                           // 000000005F14: D86C1140 53000015
	ds_read_b32 v86, v21 offset:6528                           // 000000005F1C: D86C1980 56000015
	ds_read_b32 v87, v21 offset:6592                           // 000000005F24: D86C19C0 57000015
	ds_read_b32 v90, v21 offset:8704                           // 000000005F2C: D86C2200 5A000015
	ds_read_b32 v91, v21 offset:8768                           // 000000005F34: D86C2240 5B000015
	ds_read_b32 v94, v21 offset:10880                          // 000000005F3C: D86C2A80 5E000015
	ds_read_b32 v95, v21 offset:10944                          // 000000005F44: D86C2AC0 5F000015
	ds_read_b32 v98, v21 offset:13056                          // 000000005F4C: D86C3300 62000015
	ds_read_b32 v99, v21 offset:13120                          // 000000005F54: D86C3340 63000015
	s_waitcnt lgkmcnt(0)                                       // 000000005F5C: BF8CC07F
	v_mov_b32_e32 v7, 0                                        // 000000005F60: 7E0E0280
	s_mov_b64 exec, s[36:37]                                   // 000000005F64: BEFE0124
	v_mov_b32_e32 v6, v56                                      // 000000005F68: 7E0C0338
	s_mov_b64 s[60:61], 0                                      // 000000005F6C: BEBC0180
	v_readlane_b32 s82, v3, 0                                  // 000000005F70: D2890052 00010103
	s_and_b32 s82, s82, 0xffffff                               // 000000005F78: 8652FF52 00FFFFFF
	s_cmp_lt_u32 s82, s66                                      // 000000005F80: BF0A4252
	s_cselect_b32 s20, s36, s60                                // 000000005F84: 85143C24
	v_readlane_b32 s82, v3, 1                                  // 000000005F88: D2890052 00010303
	s_and_b32 s82, s82, 0xffffff                               // 000000005F90: 8652FF52 00FFFFFF
	s_cmp_lt_u32 s82, s66                                      // 000000005F98: BF0A4252
	s_cselect_b32 s21, s36, s60                                // 000000005F9C: 85153C24
	s_mov_b64 exec, s[20:21]                                   // 000000005FA0: BEFE0114
	global_atomic_add_f32 v6, v74, s[8:9] offset:8             // 000000005FA4: DD348008 00084A06
	s_mov_b64 exec, s[36:37]                                   // 000000005FAC: BEFE0124
	v_mov_b32_e32 v6, v57                                      // 000000005FB0: 7E0C0339
	s_mov_b64 s[60:61], 0                                      // 000000005FB4: BEBC0180
	v_readlane_b32 s82, v3, 2                                  // 000000005FB8: D2890052 00010503
	s_and_b32 s82, s82, 0xffffff                               // 000000005FC0: 8652FF52 00FFFFFF
	s_cmp_lt_u32 s82, s66                                      // 000000005FC8: BF0A4252
	s_cselect_b32 s20, s36, s60                                // 000000005FCC: 85143C24
	v_readlane_b32 s82, v3, 3                                  // 000000005FD0: D2890052 00010703
	s_and_b32 s82, s82, 0xffffff                               // 000000005FD8: 8652FF52 00FFFFFF
	s_cmp_lt_u32 s82, s66                                      // 000000005FE0: BF0A4252
	s_cselect_b32 s21, s36, s60                                // 000000005FE4: 85153C24
	s_mov_b64 exec, s[20:21]                                   // 000000005FE8: BEFE0114
	global_atomic_add_f32 v6, v75, s[8:9] offset:8             // 000000005FEC: DD348008 00084B06
	s_mov_b64 exec, s[36:37]                                   // 000000005FF4: BEFE0124
	v_mov_b32_e32 v6, v58                                      // 000000005FF8: 7E0C033A
	s_mov_b64 s[60:61], 0                                      // 000000005FFC: BEBC0180
	v_readlane_b32 s82, v3, 4                                  // 000000006000: D2890052 00010903
	s_and_b32 s82, s82, 0xffffff                               // 000000006008: 8652FF52 00FFFFFF
	s_cmp_lt_u32 s82, s66                                      // 000000006010: BF0A4252
	s_cselect_b32 s20, s36, s60                                // 000000006014: 85143C24
	v_readlane_b32 s82, v3, 5                                  // 000000006018: D2890052 00010B03
	s_and_b32 s82, s82, 0xffffff                               // 000000006020: 8652FF52 00FFFFFF
	s_cmp_lt_u32 s82, s66                                      // 000000006028: BF0A4252
	s_cselect_b32 s21, s36, s60                                // 00000000602C: 85153C24
	s_mov_b64 exec, s[20:21]                                   // 000000006030: BEFE0114
	global_atomic_add_f32 v6, v78, s[8:9] offset:8             // 000000006034: DD348008 00084E06
	s_mov_b64 exec, s[36:37]                                   // 00000000603C: BEFE0124
	v_mov_b32_e32 v6, v59                                      // 000000006040: 7E0C033B
	s_mov_b64 s[60:61], 0                                      // 000000006044: BEBC0180
	v_readlane_b32 s82, v3, 6                                  // 000000006048: D2890052 00010D03
	s_and_b32 s82, s82, 0xffffff                               // 000000006050: 8652FF52 00FFFFFF
	s_cmp_lt_u32 s82, s66                                      // 000000006058: BF0A4252
	s_cselect_b32 s20, s36, s60                                // 00000000605C: 85143C24
	v_readlane_b32 s82, v3, 7                                  // 000000006060: D2890052 00010F03
	s_and_b32 s82, s82, 0xffffff                               // 000000006068: 8652FF52 00FFFFFF
	s_cmp_lt_u32 s82, s66                                      // 000000006070: BF0A4252
	s_cselect_b32 s21, s36, s60                                // 000000006074: 85153C24
	s_mov_b64 exec, s[20:21]                                   // 000000006078: BEFE0114
	global_atomic_add_f32 v6, v79, s[8:9] offset:8             // 00000000607C: DD348008 00084F06
	s_mov_b64 exec, s[36:37]                                   // 000000006084: BEFE0124
	v_mov_b32_e32 v6, v60                                      // 000000006088: 7E0C033C
	s_mov_b64 s[60:61], 0                                      // 00000000608C: BEBC0180
	v_readlane_b32 s82, v3, 8                                  // 000000006090: D2890052 00011103
	s_and_b32 s82, s82, 0xffffff                               // 000000006098: 8652FF52 00FFFFFF
	s_cmp_lt_u32 s82, s66                                      // 0000000060A0: BF0A4252
	s_cselect_b32 s20, s36, s60                                // 0000000060A4: 85143C24
	v_readlane_b32 s82, v3, 9                                  // 0000000060A8: D2890052 00011303
	s_and_b32 s82, s82, 0xffffff                               // 0000000060B0: 8652FF52 00FFFFFF
	s_cmp_lt_u32 s82, s66                                      // 0000000060B8: BF0A4252
	s_cselect_b32 s21, s36, s60                                // 0000000060BC: 85153C24
	s_mov_b64 exec, s[20:21]                                   // 0000000060C0: BEFE0114
	global_atomic_add_f32 v6, v82, s[8:9] offset:8             // 0000000060C4: DD348008 00085206
	s_mov_b64 exec, s[36:37]                                   // 0000000060CC: BEFE0124
	v_mov_b32_e32 v6, v61                                      // 0000000060D0: 7E0C033D
	s_mov_b64 s[60:61], 0                                      // 0000000060D4: BEBC0180
	v_readlane_b32 s82, v3, 10                                 // 0000000060D8: D2890052 00011503
	s_and_b32 s82, s82, 0xffffff                               // 0000000060E0: 8652FF52 00FFFFFF
	s_cmp_lt_u32 s82, s66                                      // 0000000060E8: BF0A4252
	s_cselect_b32 s20, s36, s60                                // 0000000060EC: 85143C24
	v_readlane_b32 s82, v3, 11                                 // 0000000060F0: D2890052 00011703
	s_and_b32 s82, s82, 0xffffff                               // 0000000060F8: 8652FF52 00FFFFFF
	s_cmp_lt_u32 s82, s66                                      // 000000006100: BF0A4252
	s_cselect_b32 s21, s36, s60                                // 000000006104: 85153C24
	s_mov_b64 exec, s[20:21]                                   // 000000006108: BEFE0114
	global_atomic_add_f32 v6, v83, s[8:9] offset:8             // 00000000610C: DD348008 00085306
	s_mov_b64 exec, s[36:37]                                   // 000000006114: BEFE0124
	v_mov_b32_e32 v6, v62                                      // 000000006118: 7E0C033E
	s_mov_b64 s[60:61], 0                                      // 00000000611C: BEBC0180
	v_readlane_b32 s82, v3, 12                                 // 000000006120: D2890052 00011903
	s_and_b32 s82, s82, 0xffffff                               // 000000006128: 8652FF52 00FFFFFF
	s_cmp_lt_u32 s82, s66                                      // 000000006130: BF0A4252
	s_cselect_b32 s20, s36, s60                                // 000000006134: 85143C24
	v_readlane_b32 s82, v3, 13                                 // 000000006138: D2890052 00011B03
	s_and_b32 s82, s82, 0xffffff                               // 000000006140: 8652FF52 00FFFFFF
	s_cmp_lt_u32 s82, s66                                      // 000000006148: BF0A4252
	s_cselect_b32 s21, s36, s60                                // 00000000614C: 85153C24
	s_mov_b64 exec, s[20:21]                                   // 000000006150: BEFE0114
	global_atomic_add_f32 v6, v86, s[8:9] offset:8             // 000000006154: DD348008 00085606
	s_mov_b64 exec, s[36:37]                                   // 00000000615C: BEFE0124
	v_mov_b32_e32 v6, v63                                      // 000000006160: 7E0C033F
	s_mov_b64 s[60:61], 0                                      // 000000006164: BEBC0180
	v_readlane_b32 s82, v3, 14                                 // 000000006168: D2890052 00011D03
	s_and_b32 s82, s82, 0xffffff                               // 000000006170: 8652FF52 00FFFFFF
	s_cmp_lt_u32 s82, s66                                      // 000000006178: BF0A4252
	s_cselect_b32 s20, s36, s60                                // 00000000617C: 85143C24
	v_readlane_b32 s82, v3, 15                                 // 000000006180: D2890052 00011F03
	s_and_b32 s82, s82, 0xffffff                               // 000000006188: 8652FF52 00FFFFFF
	s_cmp_lt_u32 s82, s66                                      // 000000006190: BF0A4252
	s_cselect_b32 s21, s36, s60                                // 000000006194: 85153C24
	s_mov_b64 exec, s[20:21]                                   // 000000006198: BEFE0114
	global_atomic_add_f32 v6, v87, s[8:9] offset:8             // 00000000619C: DD348008 00085706
	s_mov_b64 exec, s[36:37]                                   // 0000000061A4: BEFE0124
	v_mov_b32_e32 v6, v64                                      // 0000000061A8: 7E0C0340
	s_mov_b64 s[60:61], 0                                      // 0000000061AC: BEBC0180
	v_readlane_b32 s82, v3, 16                                 // 0000000061B0: D2890052 00012103
	s_and_b32 s82, s82, 0xffffff                               // 0000000061B8: 8652FF52 00FFFFFF
	s_cmp_lt_u32 s82, s66                                      // 0000000061C0: BF0A4252
	s_cselect_b32 s20, s36, s60                                // 0000000061C4: 85143C24
	v_readlane_b32 s82, v3, 17                                 // 0000000061C8: D2890052 00012303
	s_and_b32 s82, s82, 0xffffff                               // 0000000061D0: 8652FF52 00FFFFFF
	s_cmp_lt_u32 s82, s66                                      // 0000000061D8: BF0A4252
	s_cselect_b32 s21, s36, s60                                // 0000000061DC: 85153C24
	s_mov_b64 exec, s[20:21]                                   // 0000000061E0: BEFE0114
	global_atomic_add_f32 v6, v90, s[8:9] offset:8             // 0000000061E4: DD348008 00085A06
	s_mov_b64 exec, s[36:37]                                   // 0000000061EC: BEFE0124
	v_mov_b32_e32 v6, v65                                      // 0000000061F0: 7E0C0341
	s_mov_b64 s[60:61], 0                                      // 0000000061F4: BEBC0180
	v_readlane_b32 s82, v3, 18                                 // 0000000061F8: D2890052 00012503
	s_and_b32 s82, s82, 0xffffff                               // 000000006200: 8652FF52 00FFFFFF
	s_cmp_lt_u32 s82, s66                                      // 000000006208: BF0A4252
	s_cselect_b32 s20, s36, s60                                // 00000000620C: 85143C24
	v_readlane_b32 s82, v3, 19                                 // 000000006210: D2890052 00012703
	s_and_b32 s82, s82, 0xffffff                               // 000000006218: 8652FF52 00FFFFFF
	s_cmp_lt_u32 s82, s66                                      // 000000006220: BF0A4252
	s_cselect_b32 s21, s36, s60                                // 000000006224: 85153C24
	s_mov_b64 exec, s[20:21]                                   // 000000006228: BEFE0114
	global_atomic_add_f32 v6, v91, s[8:9] offset:8             // 00000000622C: DD348008 00085B06
	s_mov_b64 exec, s[36:37]                                   // 000000006234: BEFE0124
	v_mov_b32_e32 v6, v66                                      // 000000006238: 7E0C0342
	s_mov_b64 s[60:61], 0                                      // 00000000623C: BEBC0180
	v_readlane_b32 s82, v3, 20                                 // 000000006240: D2890052 00012903
	s_and_b32 s82, s82, 0xffffff                               // 000000006248: 8652FF52 00FFFFFF
	s_cmp_lt_u32 s82, s66                                      // 000000006250: BF0A4252
	s_cselect_b32 s20, s36, s60                                // 000000006254: 85143C24
	v_readlane_b32 s82, v3, 21                                 // 000000006258: D2890052 00012B03
	s_and_b32 s82, s82, 0xffffff                               // 000000006260: 8652FF52 00FFFFFF
	s_cmp_lt_u32 s82, s66                                      // 000000006268: BF0A4252
	s_cselect_b32 s21, s36, s60                                // 00000000626C: 85153C24
	s_mov_b64 exec, s[20:21]                                   // 000000006270: BEFE0114
	global_atomic_add_f32 v6, v94, s[8:9] offset:8             // 000000006274: DD348008 00085E06
	s_mov_b64 exec, s[36:37]                                   // 00000000627C: BEFE0124
	v_mov_b32_e32 v6, v67                                      // 000000006280: 7E0C0343
	s_mov_b64 s[60:61], 0                                      // 000000006284: BEBC0180
	v_readlane_b32 s82, v3, 22                                 // 000000006288: D2890052 00012D03
	s_and_b32 s82, s82, 0xffffff                               // 000000006290: 8652FF52 00FFFFFF
	s_cmp_lt_u32 s82, s66                                      // 000000006298: BF0A4252
	s_cselect_b32 s20, s36, s60                                // 00000000629C: 85143C24
	v_readlane_b32 s82, v3, 23                                 // 0000000062A0: D2890052 00012F03
	s_and_b32 s82, s82, 0xffffff                               // 0000000062A8: 8652FF52 00FFFFFF
	s_cmp_lt_u32 s82, s66                                      // 0000000062B0: BF0A4252
	s_cselect_b32 s21, s36, s60                                // 0000000062B4: 85153C24
	s_mov_b64 exec, s[20:21]                                   // 0000000062B8: BEFE0114
	global_atomic_add_f32 v6, v95, s[8:9] offset:8             // 0000000062BC: DD348008 00085F06
	s_mov_b64 exec, s[36:37]                                   // 0000000062C4: BEFE0124
	v_mov_b32_e32 v6, v68                                      // 0000000062C8: 7E0C0344
	s_mov_b64 s[60:61], 0                                      // 0000000062CC: BEBC0180
	v_readlane_b32 s82, v3, 24                                 // 0000000062D0: D2890052 00013103
	s_and_b32 s82, s82, 0xffffff                               // 0000000062D8: 8652FF52 00FFFFFF
	s_cmp_lt_u32 s82, s66                                      // 0000000062E0: BF0A4252
	s_cselect_b32 s20, s36, s60                                // 0000000062E4: 85143C24
	v_readlane_b32 s82, v3, 25                                 // 0000000062E8: D2890052 00013303
	s_and_b32 s82, s82, 0xffffff                               // 0000000062F0: 8652FF52 00FFFFFF
	s_cmp_lt_u32 s82, s66                                      // 0000000062F8: BF0A4252
	s_cselect_b32 s21, s36, s60                                // 0000000062FC: 85153C24
	s_mov_b64 exec, s[20:21]                                   // 000000006300: BEFE0114
	global_atomic_add_f32 v6, v98, s[8:9] offset:8             // 000000006304: DD348008 00086206
	s_mov_b64 exec, s[36:37]                                   // 00000000630C: BEFE0124
	v_mov_b32_e32 v6, v69                                      // 000000006310: 7E0C0345
	s_mov_b64 s[60:61], 0                                      // 000000006314: BEBC0180
	v_readlane_b32 s82, v3, 26                                 // 000000006318: D2890052 00013503
	s_and_b32 s82, s82, 0xffffff                               // 000000006320: 8652FF52 00FFFFFF
	s_cmp_lt_u32 s82, s66                                      // 000000006328: BF0A4252
	s_cselect_b32 s20, s36, s60                                // 00000000632C: 85143C24
	v_readlane_b32 s82, v3, 27                                 // 000000006330: D2890052 00013703
	s_and_b32 s82, s82, 0xffffff                               // 000000006338: 8652FF52 00FFFFFF
	s_cmp_lt_u32 s82, s66                                      // 000000006340: BF0A4252
	s_cselect_b32 s21, s36, s60                                // 000000006344: 85153C24
	s_mov_b64 exec, s[20:21]                                   // 000000006348: BEFE0114
	global_atomic_add_f32 v6, v99, s[8:9] offset:8             // 00000000634C: DD348008 00086306
	s_mov_b64 exec, s[36:37]                                   // 000000006354: BEFE0124
	ds_write_b64 v20, v[100:101]                               // 000000006358: D89A0000 00006414
	ds_write_b64 v20, v[104:105] offset:2176                   // 000000006360: D89A0880 00006814
	ds_write_b64 v20, v[108:109] offset:4352                   // 000000006368: D89A1100 00006C14
	ds_write_b64 v20, v[112:113] offset:6528                   // 000000006370: D89A1980 00007014
	ds_write_b64 v20, v[116:117] offset:8704                   // 000000006378: D89A2200 00007414
	ds_write_b64 v20, v[120:121] offset:10880                  // 000000006380: D89A2A80 00007814
	ds_write_b64 v20, v[124:125] offset:13056                  // 000000006388: D89A3300 00007C14
	s_waitcnt lgkmcnt(0)                                       // 000000006390: BF8CC07F
	s_barrier                                                  // 000000006394: BF8A0000
	ds_read_b32 v100, v21                                      // 000000006398: D86C0000 64000015
	ds_read_b32 v101, v21 offset:64                            // 0000000063A0: D86C0040 65000015
	ds_read_b32 v104, v21 offset:2176                          // 0000000063A8: D86C0880 68000015
	ds_read_b32 v105, v21 offset:2240                          // 0000000063B0: D86C08C0 69000015
	ds_read_b32 v108, v21 offset:4352                          // 0000000063B8: D86C1100 6C000015
	ds_read_b32 v109, v21 offset:4416                          // 0000000063C0: D86C1140 6D000015
	ds_read_b32 v112, v21 offset:6528                          // 0000000063C8: D86C1980 70000015
	ds_read_b32 v113, v21 offset:6592                          // 0000000063D0: D86C19C0 71000015
	ds_read_b32 v116, v21 offset:8704                          // 0000000063D8: D86C2200 74000015
	ds_read_b32 v117, v21 offset:8768                          // 0000000063E0: D86C2240 75000015
	ds_read_b32 v120, v21 offset:10880                         // 0000000063E8: D86C2A80 78000015
	ds_read_b32 v121, v21 offset:10944                         // 0000000063F0: D86C2AC0 79000015
	ds_read_b32 v124, v21 offset:13056                         // 0000000063F8: D86C3300 7C000015
	ds_read_b32 v125, v21 offset:13120                         // 000000006400: D86C3340 7D000015
	s_mul_i32 s60, s65, 4                                      // 000000006408: 923C8441
	s_add_u32 s8, s60, s8                                      // 00000000640C: 8008083C
	s_addc_u32 s9, 0, s9                                       // 000000006410: 82090980
	s_waitcnt lgkmcnt(0)                                       // 000000006414: BF8CC07F
	v_mov_b32_e32 v7, 0                                        // 000000006418: 7E0E0280
	s_mov_b64 exec, s[36:37]                                   // 00000000641C: BEFE0124
	v_mov_b32_e32 v6, v56                                      // 000000006420: 7E0C0338
	s_mov_b64 s[60:61], 0                                      // 000000006424: BEBC0180
	v_readlane_b32 s82, v3, 0                                  // 000000006428: D2890052 00010103
	s_and_b32 s82, s82, 0xffffff                               // 000000006430: 8652FF52 00FFFFFF
	s_cmp_lt_u32 s82, s66                                      // 000000006438: BF0A4252
	s_cselect_b32 s20, s36, s60                                // 00000000643C: 85143C24
	v_readlane_b32 s82, v3, 1                                  // 000000006440: D2890052 00010303
	s_and_b32 s82, s82, 0xffffff                               // 000000006448: 8652FF52 00FFFFFF
	s_cmp_lt_u32 s82, s66                                      // 000000006450: BF0A4252
	s_cselect_b32 s21, s36, s60                                // 000000006454: 85153C24
	s_mov_b64 exec, s[20:21]                                   // 000000006458: BEFE0114
	global_atomic_add_f32 v6, v100, s[8:9]                     // 00000000645C: DD348000 00086406
	s_mov_b64 exec, s[36:37]                                   // 000000006464: BEFE0124
	v_mov_b32_e32 v6, v57                                      // 000000006468: 7E0C0339
	s_mov_b64 s[60:61], 0                                      // 00000000646C: BEBC0180
	v_readlane_b32 s82, v3, 2                                  // 000000006470: D2890052 00010503
	s_and_b32 s82, s82, 0xffffff                               // 000000006478: 8652FF52 00FFFFFF
	s_cmp_lt_u32 s82, s66                                      // 000000006480: BF0A4252
	s_cselect_b32 s20, s36, s60                                // 000000006484: 85143C24
	v_readlane_b32 s82, v3, 3                                  // 000000006488: D2890052 00010703
	s_and_b32 s82, s82, 0xffffff                               // 000000006490: 8652FF52 00FFFFFF
	s_cmp_lt_u32 s82, s66                                      // 000000006498: BF0A4252
	s_cselect_b32 s21, s36, s60                                // 00000000649C: 85153C24
	s_mov_b64 exec, s[20:21]                                   // 0000000064A0: BEFE0114
	global_atomic_add_f32 v6, v101, s[8:9]                     // 0000000064A4: DD348000 00086506
	s_mov_b64 exec, s[36:37]                                   // 0000000064AC: BEFE0124
	v_mov_b32_e32 v6, v58                                      // 0000000064B0: 7E0C033A
	s_mov_b64 s[60:61], 0                                      // 0000000064B4: BEBC0180
	v_readlane_b32 s82, v3, 4                                  // 0000000064B8: D2890052 00010903
	s_and_b32 s82, s82, 0xffffff                               // 0000000064C0: 8652FF52 00FFFFFF
	s_cmp_lt_u32 s82, s66                                      // 0000000064C8: BF0A4252
	s_cselect_b32 s20, s36, s60                                // 0000000064CC: 85143C24
	v_readlane_b32 s82, v3, 5                                  // 0000000064D0: D2890052 00010B03
	s_and_b32 s82, s82, 0xffffff                               // 0000000064D8: 8652FF52 00FFFFFF
	s_cmp_lt_u32 s82, s66                                      // 0000000064E0: BF0A4252
	s_cselect_b32 s21, s36, s60                                // 0000000064E4: 85153C24
	s_mov_b64 exec, s[20:21]                                   // 0000000064E8: BEFE0114
	global_atomic_add_f32 v6, v104, s[8:9]                     // 0000000064EC: DD348000 00086806
	s_mov_b64 exec, s[36:37]                                   // 0000000064F4: BEFE0124
	v_mov_b32_e32 v6, v59                                      // 0000000064F8: 7E0C033B
	s_mov_b64 s[60:61], 0                                      // 0000000064FC: BEBC0180
	v_readlane_b32 s82, v3, 6                                  // 000000006500: D2890052 00010D03
	s_and_b32 s82, s82, 0xffffff                               // 000000006508: 8652FF52 00FFFFFF
	s_cmp_lt_u32 s82, s66                                      // 000000006510: BF0A4252
	s_cselect_b32 s20, s36, s60                                // 000000006514: 85143C24
	v_readlane_b32 s82, v3, 7                                  // 000000006518: D2890052 00010F03
	s_and_b32 s82, s82, 0xffffff                               // 000000006520: 8652FF52 00FFFFFF
	s_cmp_lt_u32 s82, s66                                      // 000000006528: BF0A4252
	s_cselect_b32 s21, s36, s60                                // 00000000652C: 85153C24
	s_mov_b64 exec, s[20:21]                                   // 000000006530: BEFE0114
	global_atomic_add_f32 v6, v105, s[8:9]                     // 000000006534: DD348000 00086906
	s_mov_b64 exec, s[36:37]                                   // 00000000653C: BEFE0124
	v_mov_b32_e32 v6, v60                                      // 000000006540: 7E0C033C
	s_mov_b64 s[60:61], 0                                      // 000000006544: BEBC0180
	v_readlane_b32 s82, v3, 8                                  // 000000006548: D2890052 00011103
	s_and_b32 s82, s82, 0xffffff                               // 000000006550: 8652FF52 00FFFFFF
	s_cmp_lt_u32 s82, s66                                      // 000000006558: BF0A4252
	s_cselect_b32 s20, s36, s60                                // 00000000655C: 85143C24
	v_readlane_b32 s82, v3, 9                                  // 000000006560: D2890052 00011303
	s_and_b32 s82, s82, 0xffffff                               // 000000006568: 8652FF52 00FFFFFF
	s_cmp_lt_u32 s82, s66                                      // 000000006570: BF0A4252
	s_cselect_b32 s21, s36, s60                                // 000000006574: 85153C24
	s_mov_b64 exec, s[20:21]                                   // 000000006578: BEFE0114
	global_atomic_add_f32 v6, v108, s[8:9]                     // 00000000657C: DD348000 00086C06
	s_mov_b64 exec, s[36:37]                                   // 000000006584: BEFE0124
	v_mov_b32_e32 v6, v61                                      // 000000006588: 7E0C033D
	s_mov_b64 s[60:61], 0                                      // 00000000658C: BEBC0180
	v_readlane_b32 s82, v3, 10                                 // 000000006590: D2890052 00011503
	s_and_b32 s82, s82, 0xffffff                               // 000000006598: 8652FF52 00FFFFFF
	s_cmp_lt_u32 s82, s66                                      // 0000000065A0: BF0A4252
	s_cselect_b32 s20, s36, s60                                // 0000000065A4: 85143C24
	v_readlane_b32 s82, v3, 11                                 // 0000000065A8: D2890052 00011703
	s_and_b32 s82, s82, 0xffffff                               // 0000000065B0: 8652FF52 00FFFFFF
	s_cmp_lt_u32 s82, s66                                      // 0000000065B8: BF0A4252
	s_cselect_b32 s21, s36, s60                                // 0000000065BC: 85153C24
	s_mov_b64 exec, s[20:21]                                   // 0000000065C0: BEFE0114
	global_atomic_add_f32 v6, v109, s[8:9]                     // 0000000065C4: DD348000 00086D06
	s_mov_b64 exec, s[36:37]                                   // 0000000065CC: BEFE0124
	v_mov_b32_e32 v6, v62                                      // 0000000065D0: 7E0C033E
	s_mov_b64 s[60:61], 0                                      // 0000000065D4: BEBC0180
	v_readlane_b32 s82, v3, 12                                 // 0000000065D8: D2890052 00011903
	s_and_b32 s82, s82, 0xffffff                               // 0000000065E0: 8652FF52 00FFFFFF
	s_cmp_lt_u32 s82, s66                                      // 0000000065E8: BF0A4252
	s_cselect_b32 s20, s36, s60                                // 0000000065EC: 85143C24
	v_readlane_b32 s82, v3, 13                                 // 0000000065F0: D2890052 00011B03
	s_and_b32 s82, s82, 0xffffff                               // 0000000065F8: 8652FF52 00FFFFFF
	s_cmp_lt_u32 s82, s66                                      // 000000006600: BF0A4252
	s_cselect_b32 s21, s36, s60                                // 000000006604: 85153C24
	s_mov_b64 exec, s[20:21]                                   // 000000006608: BEFE0114
	global_atomic_add_f32 v6, v112, s[8:9]                     // 00000000660C: DD348000 00087006
	s_mov_b64 exec, s[36:37]                                   // 000000006614: BEFE0124
	v_mov_b32_e32 v6, v63                                      // 000000006618: 7E0C033F
	s_mov_b64 s[60:61], 0                                      // 00000000661C: BEBC0180
	v_readlane_b32 s82, v3, 14                                 // 000000006620: D2890052 00011D03
	s_and_b32 s82, s82, 0xffffff                               // 000000006628: 8652FF52 00FFFFFF
	s_cmp_lt_u32 s82, s66                                      // 000000006630: BF0A4252
	s_cselect_b32 s20, s36, s60                                // 000000006634: 85143C24
	v_readlane_b32 s82, v3, 15                                 // 000000006638: D2890052 00011F03
	s_and_b32 s82, s82, 0xffffff                               // 000000006640: 8652FF52 00FFFFFF
	s_cmp_lt_u32 s82, s66                                      // 000000006648: BF0A4252
	s_cselect_b32 s21, s36, s60                                // 00000000664C: 85153C24
	s_mov_b64 exec, s[20:21]                                   // 000000006650: BEFE0114
	global_atomic_add_f32 v6, v113, s[8:9]                     // 000000006654: DD348000 00087106
	s_mov_b64 exec, s[36:37]                                   // 00000000665C: BEFE0124
	v_mov_b32_e32 v6, v64                                      // 000000006660: 7E0C0340
	s_mov_b64 s[60:61], 0                                      // 000000006664: BEBC0180
	v_readlane_b32 s82, v3, 16                                 // 000000006668: D2890052 00012103
	s_and_b32 s82, s82, 0xffffff                               // 000000006670: 8652FF52 00FFFFFF
	s_cmp_lt_u32 s82, s66                                      // 000000006678: BF0A4252
	s_cselect_b32 s20, s36, s60                                // 00000000667C: 85143C24
	v_readlane_b32 s82, v3, 17                                 // 000000006680: D2890052 00012303
	s_and_b32 s82, s82, 0xffffff                               // 000000006688: 8652FF52 00FFFFFF
	s_cmp_lt_u32 s82, s66                                      // 000000006690: BF0A4252
	s_cselect_b32 s21, s36, s60                                // 000000006694: 85153C24
	s_mov_b64 exec, s[20:21]                                   // 000000006698: BEFE0114
	global_atomic_add_f32 v6, v116, s[8:9]                     // 00000000669C: DD348000 00087406
	s_mov_b64 exec, s[36:37]                                   // 0000000066A4: BEFE0124
	v_mov_b32_e32 v6, v65                                      // 0000000066A8: 7E0C0341
	s_mov_b64 s[60:61], 0                                      // 0000000066AC: BEBC0180
	v_readlane_b32 s82, v3, 18                                 // 0000000066B0: D2890052 00012503
	s_and_b32 s82, s82, 0xffffff                               // 0000000066B8: 8652FF52 00FFFFFF
	s_cmp_lt_u32 s82, s66                                      // 0000000066C0: BF0A4252
	s_cselect_b32 s20, s36, s60                                // 0000000066C4: 85143C24
	v_readlane_b32 s82, v3, 19                                 // 0000000066C8: D2890052 00012703
	s_and_b32 s82, s82, 0xffffff                               // 0000000066D0: 8652FF52 00FFFFFF
	s_cmp_lt_u32 s82, s66                                      // 0000000066D8: BF0A4252
	s_cselect_b32 s21, s36, s60                                // 0000000066DC: 85153C24
	s_mov_b64 exec, s[20:21]                                   // 0000000066E0: BEFE0114
	global_atomic_add_f32 v6, v117, s[8:9]                     // 0000000066E4: DD348000 00087506
	s_mov_b64 exec, s[36:37]                                   // 0000000066EC: BEFE0124
	v_mov_b32_e32 v6, v66                                      // 0000000066F0: 7E0C0342
	s_mov_b64 s[60:61], 0                                      // 0000000066F4: BEBC0180
	v_readlane_b32 s82, v3, 20                                 // 0000000066F8: D2890052 00012903
	s_and_b32 s82, s82, 0xffffff                               // 000000006700: 8652FF52 00FFFFFF
	s_cmp_lt_u32 s82, s66                                      // 000000006708: BF0A4252
	s_cselect_b32 s20, s36, s60                                // 00000000670C: 85143C24
	v_readlane_b32 s82, v3, 21                                 // 000000006710: D2890052 00012B03
	s_and_b32 s82, s82, 0xffffff                               // 000000006718: 8652FF52 00FFFFFF
	s_cmp_lt_u32 s82, s66                                      // 000000006720: BF0A4252
	s_cselect_b32 s21, s36, s60                                // 000000006724: 85153C24
	s_mov_b64 exec, s[20:21]                                   // 000000006728: BEFE0114
	global_atomic_add_f32 v6, v120, s[8:9]                     // 00000000672C: DD348000 00087806
	s_mov_b64 exec, s[36:37]                                   // 000000006734: BEFE0124
	v_mov_b32_e32 v6, v67                                      // 000000006738: 7E0C0343
	s_mov_b64 s[60:61], 0                                      // 00000000673C: BEBC0180
	v_readlane_b32 s82, v3, 22                                 // 000000006740: D2890052 00012D03
	s_and_b32 s82, s82, 0xffffff                               // 000000006748: 8652FF52 00FFFFFF
	s_cmp_lt_u32 s82, s66                                      // 000000006750: BF0A4252
	s_cselect_b32 s20, s36, s60                                // 000000006754: 85143C24
	v_readlane_b32 s82, v3, 23                                 // 000000006758: D2890052 00012F03
	s_and_b32 s82, s82, 0xffffff                               // 000000006760: 8652FF52 00FFFFFF
	s_cmp_lt_u32 s82, s66                                      // 000000006768: BF0A4252
	s_cselect_b32 s21, s36, s60                                // 00000000676C: 85153C24
	s_mov_b64 exec, s[20:21]                                   // 000000006770: BEFE0114
	global_atomic_add_f32 v6, v121, s[8:9]                     // 000000006774: DD348000 00087906
	s_mov_b64 exec, s[36:37]                                   // 00000000677C: BEFE0124
	v_mov_b32_e32 v6, v68                                      // 000000006780: 7E0C0344
	s_mov_b64 s[60:61], 0                                      // 000000006784: BEBC0180
	v_readlane_b32 s82, v3, 24                                 // 000000006788: D2890052 00013103
	s_and_b32 s82, s82, 0xffffff                               // 000000006790: 8652FF52 00FFFFFF
	s_cmp_lt_u32 s82, s66                                      // 000000006798: BF0A4252
	s_cselect_b32 s20, s36, s60                                // 00000000679C: 85143C24
	v_readlane_b32 s82, v3, 25                                 // 0000000067A0: D2890052 00013303
	s_and_b32 s82, s82, 0xffffff                               // 0000000067A8: 8652FF52 00FFFFFF
	s_cmp_lt_u32 s82, s66                                      // 0000000067B0: BF0A4252
	s_cselect_b32 s21, s36, s60                                // 0000000067B4: 85153C24
	s_mov_b64 exec, s[20:21]                                   // 0000000067B8: BEFE0114
	global_atomic_add_f32 v6, v124, s[8:9]                     // 0000000067BC: DD348000 00087C06
	s_mov_b64 exec, s[36:37]                                   // 0000000067C4: BEFE0124
	v_mov_b32_e32 v6, v69                                      // 0000000067C8: 7E0C0345
	s_mov_b64 s[60:61], 0                                      // 0000000067CC: BEBC0180
	v_readlane_b32 s82, v3, 26                                 // 0000000067D0: D2890052 00013503
	s_and_b32 s82, s82, 0xffffff                               // 0000000067D8: 8652FF52 00FFFFFF
	s_cmp_lt_u32 s82, s66                                      // 0000000067E0: BF0A4252
	s_cselect_b32 s20, s36, s60                                // 0000000067E4: 85143C24
	v_readlane_b32 s82, v3, 27                                 // 0000000067E8: D2890052 00013703
	s_and_b32 s82, s82, 0xffffff                               // 0000000067F0: 8652FF52 00FFFFFF
	s_cmp_lt_u32 s82, s66                                      // 0000000067F8: BF0A4252
	s_cselect_b32 s21, s36, s60                                // 0000000067FC: 85153C24
	s_mov_b64 exec, s[20:21]                                   // 000000006800: BEFE0114
	global_atomic_add_f32 v6, v125, s[8:9]                     // 000000006804: DD348000 00087D06
	s_mov_b64 exec, s[36:37]                                   // 00000000680C: BEFE0124
	ds_write_b64 v20, v[102:103]                               // 000000006810: D89A0000 00006614
	ds_write_b64 v20, v[106:107] offset:2176                   // 000000006818: D89A0880 00006A14
	ds_write_b64 v20, v[110:111] offset:4352                   // 000000006820: D89A1100 00006E14
	ds_write_b64 v20, v[114:115] offset:6528                   // 000000006828: D89A1980 00007214
	ds_write_b64 v20, v[118:119] offset:8704                   // 000000006830: D89A2200 00007614
	ds_write_b64 v20, v[122:123] offset:10880                  // 000000006838: D89A2A80 00007A14
	ds_write_b64 v20, v[126:127] offset:13056                  // 000000006840: D89A3300 00007E14
	s_waitcnt lgkmcnt(0)                                       // 000000006848: BF8CC07F
	s_barrier                                                  // 00000000684C: BF8A0000
	ds_read_b32 v102, v21                                      // 000000006850: D86C0000 66000015
	ds_read_b32 v103, v21 offset:64                            // 000000006858: D86C0040 67000015
	ds_read_b32 v106, v21 offset:2176                          // 000000006860: D86C0880 6A000015
	ds_read_b32 v107, v21 offset:2240                          // 000000006868: D86C08C0 6B000015
	ds_read_b32 v110, v21 offset:4352                          // 000000006870: D86C1100 6E000015
	ds_read_b32 v111, v21 offset:4416                          // 000000006878: D86C1140 6F000015
	ds_read_b32 v114, v21 offset:6528                          // 000000006880: D86C1980 72000015
	ds_read_b32 v115, v21 offset:6592                          // 000000006888: D86C19C0 73000015
	ds_read_b32 v118, v21 offset:8704                          // 000000006890: D86C2200 76000015
	ds_read_b32 v119, v21 offset:8768                          // 000000006898: D86C2240 77000015
	ds_read_b32 v122, v21 offset:10880                         // 0000000068A0: D86C2A80 7A000015
	ds_read_b32 v123, v21 offset:10944                         // 0000000068A8: D86C2AC0 7B000015
	ds_read_b32 v126, v21 offset:13056                         // 0000000068B0: D86C3300 7E000015
	ds_read_b32 v127, v21 offset:13120                         // 0000000068B8: D86C3340 7F000015
	s_waitcnt lgkmcnt(0)                                       // 0000000068C0: BF8CC07F
	v_mov_b32_e32 v7, 0                                        // 0000000068C4: 7E0E0280
	s_mov_b64 exec, s[36:37]                                   // 0000000068C8: BEFE0124
	v_mov_b32_e32 v6, v56                                      // 0000000068CC: 7E0C0338
	s_mov_b64 s[60:61], 0                                      // 0000000068D0: BEBC0180
	v_readlane_b32 s82, v3, 0                                  // 0000000068D4: D2890052 00010103
	s_and_b32 s82, s82, 0xffffff                               // 0000000068DC: 8652FF52 00FFFFFF
	s_cmp_lt_u32 s82, s66                                      // 0000000068E4: BF0A4252
	s_cselect_b32 s20, s36, s60                                // 0000000068E8: 85143C24
	v_readlane_b32 s82, v3, 1                                  // 0000000068EC: D2890052 00010303
	s_and_b32 s82, s82, 0xffffff                               // 0000000068F4: 8652FF52 00FFFFFF
	s_cmp_lt_u32 s82, s66                                      // 0000000068FC: BF0A4252
	s_cselect_b32 s21, s36, s60                                // 000000006900: 85153C24
	s_mov_b64 exec, s[20:21]                                   // 000000006904: BEFE0114
	global_atomic_add_f32 v6, v102, s[8:9] offset:8            // 000000006908: DD348008 00086606
	s_mov_b64 exec, s[36:37]                                   // 000000006910: BEFE0124
	v_mov_b32_e32 v6, v57                                      // 000000006914: 7E0C0339
	s_mov_b64 s[60:61], 0                                      // 000000006918: BEBC0180
	v_readlane_b32 s82, v3, 2                                  // 00000000691C: D2890052 00010503
	s_and_b32 s82, s82, 0xffffff                               // 000000006924: 8652FF52 00FFFFFF
	s_cmp_lt_u32 s82, s66                                      // 00000000692C: BF0A4252
	s_cselect_b32 s20, s36, s60                                // 000000006930: 85143C24
	v_readlane_b32 s82, v3, 3                                  // 000000006934: D2890052 00010703
	s_and_b32 s82, s82, 0xffffff                               // 00000000693C: 8652FF52 00FFFFFF
	s_cmp_lt_u32 s82, s66                                      // 000000006944: BF0A4252
	s_cselect_b32 s21, s36, s60                                // 000000006948: 85153C24
	s_mov_b64 exec, s[20:21]                                   // 00000000694C: BEFE0114
	global_atomic_add_f32 v6, v103, s[8:9] offset:8            // 000000006950: DD348008 00086706
	s_mov_b64 exec, s[36:37]                                   // 000000006958: BEFE0124
	v_mov_b32_e32 v6, v58                                      // 00000000695C: 7E0C033A
	s_mov_b64 s[60:61], 0                                      // 000000006960: BEBC0180
	v_readlane_b32 s82, v3, 4                                  // 000000006964: D2890052 00010903
	s_and_b32 s82, s82, 0xffffff                               // 00000000696C: 8652FF52 00FFFFFF
	s_cmp_lt_u32 s82, s66                                      // 000000006974: BF0A4252
	s_cselect_b32 s20, s36, s60                                // 000000006978: 85143C24
	v_readlane_b32 s82, v3, 5                                  // 00000000697C: D2890052 00010B03
	s_and_b32 s82, s82, 0xffffff                               // 000000006984: 8652FF52 00FFFFFF
	s_cmp_lt_u32 s82, s66                                      // 00000000698C: BF0A4252
	s_cselect_b32 s21, s36, s60                                // 000000006990: 85153C24
	s_mov_b64 exec, s[20:21]                                   // 000000006994: BEFE0114
	global_atomic_add_f32 v6, v106, s[8:9] offset:8            // 000000006998: DD348008 00086A06
	s_mov_b64 exec, s[36:37]                                   // 0000000069A0: BEFE0124
	v_mov_b32_e32 v6, v59                                      // 0000000069A4: 7E0C033B
	s_mov_b64 s[60:61], 0                                      // 0000000069A8: BEBC0180
	v_readlane_b32 s82, v3, 6                                  // 0000000069AC: D2890052 00010D03
	s_and_b32 s82, s82, 0xffffff                               // 0000000069B4: 8652FF52 00FFFFFF
	s_cmp_lt_u32 s82, s66                                      // 0000000069BC: BF0A4252
	s_cselect_b32 s20, s36, s60                                // 0000000069C0: 85143C24
	v_readlane_b32 s82, v3, 7                                  // 0000000069C4: D2890052 00010F03
	s_and_b32 s82, s82, 0xffffff                               // 0000000069CC: 8652FF52 00FFFFFF
	s_cmp_lt_u32 s82, s66                                      // 0000000069D4: BF0A4252
	s_cselect_b32 s21, s36, s60                                // 0000000069D8: 85153C24
	s_mov_b64 exec, s[20:21]                                   // 0000000069DC: BEFE0114
	global_atomic_add_f32 v6, v107, s[8:9] offset:8            // 0000000069E0: DD348008 00086B06
	s_mov_b64 exec, s[36:37]                                   // 0000000069E8: BEFE0124
	v_mov_b32_e32 v6, v60                                      // 0000000069EC: 7E0C033C
	s_mov_b64 s[60:61], 0                                      // 0000000069F0: BEBC0180
	v_readlane_b32 s82, v3, 8                                  // 0000000069F4: D2890052 00011103
	s_and_b32 s82, s82, 0xffffff                               // 0000000069FC: 8652FF52 00FFFFFF
	s_cmp_lt_u32 s82, s66                                      // 000000006A04: BF0A4252
	s_cselect_b32 s20, s36, s60                                // 000000006A08: 85143C24
	v_readlane_b32 s82, v3, 9                                  // 000000006A0C: D2890052 00011303
	s_and_b32 s82, s82, 0xffffff                               // 000000006A14: 8652FF52 00FFFFFF
	s_cmp_lt_u32 s82, s66                                      // 000000006A1C: BF0A4252
	s_cselect_b32 s21, s36, s60                                // 000000006A20: 85153C24
	s_mov_b64 exec, s[20:21]                                   // 000000006A24: BEFE0114
	global_atomic_add_f32 v6, v110, s[8:9] offset:8            // 000000006A28: DD348008 00086E06
	s_mov_b64 exec, s[36:37]                                   // 000000006A30: BEFE0124
	v_mov_b32_e32 v6, v61                                      // 000000006A34: 7E0C033D
	s_mov_b64 s[60:61], 0                                      // 000000006A38: BEBC0180
	v_readlane_b32 s82, v3, 10                                 // 000000006A3C: D2890052 00011503
	s_and_b32 s82, s82, 0xffffff                               // 000000006A44: 8652FF52 00FFFFFF
	s_cmp_lt_u32 s82, s66                                      // 000000006A4C: BF0A4252
	s_cselect_b32 s20, s36, s60                                // 000000006A50: 85143C24
	v_readlane_b32 s82, v3, 11                                 // 000000006A54: D2890052 00011703
	s_and_b32 s82, s82, 0xffffff                               // 000000006A5C: 8652FF52 00FFFFFF
	s_cmp_lt_u32 s82, s66                                      // 000000006A64: BF0A4252
	s_cselect_b32 s21, s36, s60                                // 000000006A68: 85153C24
	s_mov_b64 exec, s[20:21]                                   // 000000006A6C: BEFE0114
	global_atomic_add_f32 v6, v111, s[8:9] offset:8            // 000000006A70: DD348008 00086F06
	s_mov_b64 exec, s[36:37]                                   // 000000006A78: BEFE0124
	v_mov_b32_e32 v6, v62                                      // 000000006A7C: 7E0C033E
	s_mov_b64 s[60:61], 0                                      // 000000006A80: BEBC0180
	v_readlane_b32 s82, v3, 12                                 // 000000006A84: D2890052 00011903
	s_and_b32 s82, s82, 0xffffff                               // 000000006A8C: 8652FF52 00FFFFFF
	s_cmp_lt_u32 s82, s66                                      // 000000006A94: BF0A4252
	s_cselect_b32 s20, s36, s60                                // 000000006A98: 85143C24
	v_readlane_b32 s82, v3, 13                                 // 000000006A9C: D2890052 00011B03
	s_and_b32 s82, s82, 0xffffff                               // 000000006AA4: 8652FF52 00FFFFFF
	s_cmp_lt_u32 s82, s66                                      // 000000006AAC: BF0A4252
	s_cselect_b32 s21, s36, s60                                // 000000006AB0: 85153C24
	s_mov_b64 exec, s[20:21]                                   // 000000006AB4: BEFE0114
	global_atomic_add_f32 v6, v114, s[8:9] offset:8            // 000000006AB8: DD348008 00087206
	s_mov_b64 exec, s[36:37]                                   // 000000006AC0: BEFE0124
	v_mov_b32_e32 v6, v63                                      // 000000006AC4: 7E0C033F
	s_mov_b64 s[60:61], 0                                      // 000000006AC8: BEBC0180
	v_readlane_b32 s82, v3, 14                                 // 000000006ACC: D2890052 00011D03
	s_and_b32 s82, s82, 0xffffff                               // 000000006AD4: 8652FF52 00FFFFFF
	s_cmp_lt_u32 s82, s66                                      // 000000006ADC: BF0A4252
	s_cselect_b32 s20, s36, s60                                // 000000006AE0: 85143C24
	v_readlane_b32 s82, v3, 15                                 // 000000006AE4: D2890052 00011F03
	s_and_b32 s82, s82, 0xffffff                               // 000000006AEC: 8652FF52 00FFFFFF
	s_cmp_lt_u32 s82, s66                                      // 000000006AF4: BF0A4252
	s_cselect_b32 s21, s36, s60                                // 000000006AF8: 85153C24
	s_mov_b64 exec, s[20:21]                                   // 000000006AFC: BEFE0114
	global_atomic_add_f32 v6, v115, s[8:9] offset:8            // 000000006B00: DD348008 00087306
	s_mov_b64 exec, s[36:37]                                   // 000000006B08: BEFE0124
	v_mov_b32_e32 v6, v64                                      // 000000006B0C: 7E0C0340
	s_mov_b64 s[60:61], 0                                      // 000000006B10: BEBC0180
	v_readlane_b32 s82, v3, 16                                 // 000000006B14: D2890052 00012103
	s_and_b32 s82, s82, 0xffffff                               // 000000006B1C: 8652FF52 00FFFFFF
	s_cmp_lt_u32 s82, s66                                      // 000000006B24: BF0A4252
	s_cselect_b32 s20, s36, s60                                // 000000006B28: 85143C24
	v_readlane_b32 s82, v3, 17                                 // 000000006B2C: D2890052 00012303
	s_and_b32 s82, s82, 0xffffff                               // 000000006B34: 8652FF52 00FFFFFF
	s_cmp_lt_u32 s82, s66                                      // 000000006B3C: BF0A4252
	s_cselect_b32 s21, s36, s60                                // 000000006B40: 85153C24
	s_mov_b64 exec, s[20:21]                                   // 000000006B44: BEFE0114
	global_atomic_add_f32 v6, v118, s[8:9] offset:8            // 000000006B48: DD348008 00087606
	s_mov_b64 exec, s[36:37]                                   // 000000006B50: BEFE0124
	v_mov_b32_e32 v6, v65                                      // 000000006B54: 7E0C0341
	s_mov_b64 s[60:61], 0                                      // 000000006B58: BEBC0180
	v_readlane_b32 s82, v3, 18                                 // 000000006B5C: D2890052 00012503
	s_and_b32 s82, s82, 0xffffff                               // 000000006B64: 8652FF52 00FFFFFF
	s_cmp_lt_u32 s82, s66                                      // 000000006B6C: BF0A4252
	s_cselect_b32 s20, s36, s60                                // 000000006B70: 85143C24
	v_readlane_b32 s82, v3, 19                                 // 000000006B74: D2890052 00012703
	s_and_b32 s82, s82, 0xffffff                               // 000000006B7C: 8652FF52 00FFFFFF
	s_cmp_lt_u32 s82, s66                                      // 000000006B84: BF0A4252
	s_cselect_b32 s21, s36, s60                                // 000000006B88: 85153C24
	s_mov_b64 exec, s[20:21]                                   // 000000006B8C: BEFE0114
	global_atomic_add_f32 v6, v119, s[8:9] offset:8            // 000000006B90: DD348008 00087706
	s_mov_b64 exec, s[36:37]                                   // 000000006B98: BEFE0124
	v_mov_b32_e32 v6, v66                                      // 000000006B9C: 7E0C0342
	s_mov_b64 s[60:61], 0                                      // 000000006BA0: BEBC0180
	v_readlane_b32 s82, v3, 20                                 // 000000006BA4: D2890052 00012903
	s_and_b32 s82, s82, 0xffffff                               // 000000006BAC: 8652FF52 00FFFFFF
	s_cmp_lt_u32 s82, s66                                      // 000000006BB4: BF0A4252
	s_cselect_b32 s20, s36, s60                                // 000000006BB8: 85143C24
	v_readlane_b32 s82, v3, 21                                 // 000000006BBC: D2890052 00012B03
	s_and_b32 s82, s82, 0xffffff                               // 000000006BC4: 8652FF52 00FFFFFF
	s_cmp_lt_u32 s82, s66                                      // 000000006BCC: BF0A4252
	s_cselect_b32 s21, s36, s60                                // 000000006BD0: 85153C24
	s_mov_b64 exec, s[20:21]                                   // 000000006BD4: BEFE0114
	global_atomic_add_f32 v6, v122, s[8:9] offset:8            // 000000006BD8: DD348008 00087A06
	s_mov_b64 exec, s[36:37]                                   // 000000006BE0: BEFE0124
	v_mov_b32_e32 v6, v67                                      // 000000006BE4: 7E0C0343
	s_mov_b64 s[60:61], 0                                      // 000000006BE8: BEBC0180
	v_readlane_b32 s82, v3, 22                                 // 000000006BEC: D2890052 00012D03
	s_and_b32 s82, s82, 0xffffff                               // 000000006BF4: 8652FF52 00FFFFFF
	s_cmp_lt_u32 s82, s66                                      // 000000006BFC: BF0A4252
	s_cselect_b32 s20, s36, s60                                // 000000006C00: 85143C24
	v_readlane_b32 s82, v3, 23                                 // 000000006C04: D2890052 00012F03
	s_and_b32 s82, s82, 0xffffff                               // 000000006C0C: 8652FF52 00FFFFFF
	s_cmp_lt_u32 s82, s66                                      // 000000006C14: BF0A4252
	s_cselect_b32 s21, s36, s60                                // 000000006C18: 85153C24
	s_mov_b64 exec, s[20:21]                                   // 000000006C1C: BEFE0114
	global_atomic_add_f32 v6, v123, s[8:9] offset:8            // 000000006C20: DD348008 00087B06
	s_mov_b64 exec, s[36:37]                                   // 000000006C28: BEFE0124
	v_mov_b32_e32 v6, v68                                      // 000000006C2C: 7E0C0344
	s_mov_b64 s[60:61], 0                                      // 000000006C30: BEBC0180
	v_readlane_b32 s82, v3, 24                                 // 000000006C34: D2890052 00013103
	s_and_b32 s82, s82, 0xffffff                               // 000000006C3C: 8652FF52 00FFFFFF
	s_cmp_lt_u32 s82, s66                                      // 000000006C44: BF0A4252
	s_cselect_b32 s20, s36, s60                                // 000000006C48: 85143C24
	v_readlane_b32 s82, v3, 25                                 // 000000006C4C: D2890052 00013303
	s_and_b32 s82, s82, 0xffffff                               // 000000006C54: 8652FF52 00FFFFFF
	s_cmp_lt_u32 s82, s66                                      // 000000006C5C: BF0A4252
	s_cselect_b32 s21, s36, s60                                // 000000006C60: 85153C24
	s_mov_b64 exec, s[20:21]                                   // 000000006C64: BEFE0114
	global_atomic_add_f32 v6, v126, s[8:9] offset:8            // 000000006C68: DD348008 00087E06
	s_mov_b64 exec, s[36:37]                                   // 000000006C70: BEFE0124
	v_mov_b32_e32 v6, v69                                      // 000000006C74: 7E0C0345
	s_mov_b64 s[60:61], 0                                      // 000000006C78: BEBC0180
	v_readlane_b32 s82, v3, 26                                 // 000000006C7C: D2890052 00013503
	s_and_b32 s82, s82, 0xffffff                               // 000000006C84: 8652FF52 00FFFFFF
	s_cmp_lt_u32 s82, s66                                      // 000000006C8C: BF0A4252
	s_cselect_b32 s20, s36, s60                                // 000000006C90: 85143C24
	v_readlane_b32 s82, v3, 27                                 // 000000006C94: D2890052 00013703
	s_and_b32 s82, s82, 0xffffff                               // 000000006C9C: 8652FF52 00FFFFFF
	s_cmp_lt_u32 s82, s66                                      // 000000006CA4: BF0A4252
	s_cselect_b32 s21, s36, s60                                // 000000006CA8: 85153C24
	s_mov_b64 exec, s[20:21]                                   // 000000006CAC: BEFE0114
	global_atomic_add_f32 v6, v127, s[8:9] offset:8            // 000000006CB0: DD348008 00087F06
	s_mov_b64 exec, s[36:37]                                   // 000000006CB8: BEFE0124
	s_branch label_1E5F                                        // 000000006CBC: BF820DAC

0000000000006cc0 <label_10B3>:
	s_waitcnt vmcnt(0) lgkmcnt(0)                              // 000000006CC0: BF8C0070
	s_barrier                                                  // 000000006CC4: BF8A0000
	v_mfma_f32_16x16x32_fp8_fp8 v[72:75], a[112:113], a[0:1], v[72:75]// 000000006CC8: D3F30048 1D220170
	buffer_load_dwordx4 a[120:123], v70, s[84:87], 0 offen     // 000000006CD0: E05C1000 80957846
	v_mfma_f32_16x16x32_fp8_fp8 v[72:75], a[114:115], a[2:3], v[72:75]// 000000006CD8: D3F30048 1D220572
	v_mfma_f32_16x16x32_fp8_fp8 v[72:75], a[116:117], a[4:5], v[72:75]// 000000006CE0: D3F30048 1D220974
	v_mfma_f32_16x16x32_fp8_fp8 v[72:75], a[118:119], a[6:7], v[72:75]// 000000006CE8: D3F30048 1D220D76
	v_mfma_f32_16x16x32_fp8_fp8 v[76:79], a[112:113], a[8:9], v[76:79]// 000000006CF0: D3F3004C 1D321170
	buffer_load_dwordx4 a[124:127], v70, s[84:87], 0 offen offset:1024// 000000006CF8: E05C1400 80957C46
	buffer_load_dword v56, s[20:23], 0 offen lds               // 000000006D00: E0511000 80050038
	s_add_u32 m0, 0x100, s48                                   // 000000006D08: 807C30FF 00000100
	v_mfma_f32_16x16x32_fp8_fp8 v[76:79], a[114:115], a[10:11], v[76:79]// 000000006D10: D3F3004C 1D321572
	v_mfma_f32_16x16x32_fp8_fp8 v[76:79], a[116:117], a[12:13], v[76:79]// 000000006D18: D3F3004C 1D321974
	buffer_load_dword v57, s[20:23], 0 offen lds               // 000000006D20: E0511000 80050039
	s_add_u32 m0, 0x200, s48                                   // 000000006D28: 807C30FF 00000200
	v_mfma_f32_16x16x32_fp8_fp8 v[76:79], a[118:119], a[14:15], v[76:79]// 000000006D30: D3F3004C 1D321D76
	v_mfma_f32_16x16x32_fp8_fp8 v[80:83], a[112:113], a[16:17], v[80:83]// 000000006D38: D3F30050 1D422170
	buffer_load_dword v58, s[20:23], 0 offen lds               // 000000006D40: E0511000 8005003A
	s_add_u32 m0, 0x300, s48                                   // 000000006D48: 807C30FF 00000300
	v_mfma_f32_16x16x32_fp8_fp8 v[80:83], a[114:115], a[18:19], v[80:83]// 000000006D50: D3F30050 1D422572
	v_mfma_f32_16x16x32_fp8_fp8 v[80:83], a[116:117], a[20:21], v[80:83]// 000000006D58: D3F30050 1D422974
	buffer_load_dword v59, s[20:23], 0 offen lds               // 000000006D60: E0511000 8005003B
	s_add_u32 m0, 0x400, s48                                   // 000000006D68: 807C30FF 00000400
	v_mfma_f32_16x16x32_fp8_fp8 v[80:83], a[118:119], a[22:23], v[80:83]// 000000006D70: D3F30050 1D422D76
	v_mfma_f32_16x16x32_fp8_fp8 v[84:87], a[112:113], a[24:25], v[84:87]// 000000006D78: D3F30054 1D523170
	buffer_load_dword v60, s[20:23], 0 offen lds               // 000000006D80: E0511000 8005003C
	s_add_u32 m0, 0x500, s48                                   // 000000006D88: 807C30FF 00000500
	v_mfma_f32_16x16x32_fp8_fp8 v[84:87], a[114:115], a[26:27], v[84:87]// 000000006D90: D3F30054 1D523572
	v_mfma_f32_16x16x32_fp8_fp8 v[84:87], a[116:117], a[28:29], v[84:87]// 000000006D98: D3F30054 1D523974
	buffer_load_dword v61, s[20:23], 0 offen lds               // 000000006DA0: E0511000 8005003D
	s_add_u32 m0, 0x600, s48                                   // 000000006DA8: 807C30FF 00000600
	v_mfma_f32_16x16x32_fp8_fp8 v[84:87], a[118:119], a[30:31], v[84:87]// 000000006DB0: D3F30054 1D523D76
	v_mfma_f32_16x16x32_fp8_fp8 v[88:91], a[112:113], a[32:33], v[88:91]// 000000006DB8: D3F30058 1D624170
	buffer_load_dword v62, s[20:23], 0 offen lds               // 000000006DC0: E0511000 8005003E
	s_add_u32 m0, 0x700, s48                                   // 000000006DC8: 807C30FF 00000700
	v_mfma_f32_16x16x32_fp8_fp8 v[88:91], a[114:115], a[34:35], v[88:91]// 000000006DD0: D3F30058 1D624572
	v_mfma_f32_16x16x32_fp8_fp8 v[88:91], a[116:117], a[36:37], v[88:91]// 000000006DD8: D3F30058 1D624974
	buffer_load_dword v63, s[20:23], 0 offen lds               // 000000006DE0: E0511000 8005003F
	s_add_u32 m0, 0x800, s48                                   // 000000006DE8: 807C30FF 00000800
	v_mfma_f32_16x16x32_fp8_fp8 v[88:91], a[118:119], a[38:39], v[88:91]// 000000006DF0: D3F30058 1D624D76
	v_mfma_f32_16x16x32_fp8_fp8 v[92:95], a[112:113], a[40:41], v[92:95]// 000000006DF8: D3F3005C 1D725170
	buffer_load_dword v64, s[20:23], 0 offen lds               // 000000006E00: E0511000 80050040
	s_add_u32 m0, 0x900, s48                                   // 000000006E08: 807C30FF 00000900
	v_mfma_f32_16x16x32_fp8_fp8 v[92:95], a[114:115], a[42:43], v[92:95]// 000000006E10: D3F3005C 1D725572
	v_mfma_f32_16x16x32_fp8_fp8 v[92:95], a[116:117], a[44:45], v[92:95]// 000000006E18: D3F3005C 1D725974
	buffer_load_dword v65, s[20:23], 0 offen lds               // 000000006E20: E0511000 80050041
	s_add_u32 m0, 0xa00, s48                                   // 000000006E28: 807C30FF 00000A00
	v_mfma_f32_16x16x32_fp8_fp8 v[92:95], a[118:119], a[46:47], v[92:95]// 000000006E30: D3F3005C 1D725D76
	v_mfma_f32_16x16x32_fp8_fp8 v[96:99], a[112:113], a[48:49], v[96:99]// 000000006E38: D3F30060 1D826170
	buffer_load_dword v66, s[20:23], 0 offen lds               // 000000006E40: E0511000 80050042
	s_add_u32 m0, 0xb00, s48                                   // 000000006E48: 807C30FF 00000B00
	v_mfma_f32_16x16x32_fp8_fp8 v[96:99], a[114:115], a[50:51], v[96:99]// 000000006E50: D3F30060 1D826572
	s_add_u32 s60, 0x80, s80                                   // 000000006E58: 803C50FF 00000080
	s_cmp_lt_u32 s60, s81                                      // 000000006E60: BF0A513C
	s_cselect_b32 s83, s83, 0                                  // 000000006E64: 85538053
	v_mfma_f32_16x16x32_fp8_fp8 v[96:99], a[116:117], a[52:53], v[96:99]// 000000006E68: D3F30060 1D826974
	buffer_load_dword v67, s[20:23], 0 offen lds               // 000000006E70: E0511000 80050043
	s_add_u32 m0, 0xc00, s48                                   // 000000006E78: 807C30FF 00000C00
	v_mfma_f32_16x16x32_fp8_fp8 v[96:99], a[118:119], a[54:55], v[96:99]// 000000006E80: D3F30060 1D826D76
	buffer_load_dword v68, s[20:23], 0 offen lds               // 000000006E88: E0511000 80050044
	s_add_u32 m0, 0xd00, s48                                   // 000000006E90: 807C30FF 00000D00
	buffer_load_dword v69, s[20:23], 0 offen lds               // 000000006E98: E0511000 80050045
	s_add_u32 m0, 0, s49                                       // 000000006EA0: 807C3180
	s_waitcnt vmcnt(14)                                        // 000000006EA4: BF8C0F7E
	v_mfma_f32_16x16x32_fp8_fp8 v[100:103], a[120:121], a[0:1], v[100:103]// 000000006EA8: D3F30064 1D920178
	buffer_load_dwordx4 a[112:115], v70, s[24:27], 0 offen     // 000000006EB0: E05C1000 80867046
	v_mfma_f32_16x16x32_fp8_fp8 v[100:103], a[122:123], a[2:3], v[100:103]// 000000006EB8: D3F30064 1D92057A
	v_mfma_f32_16x16x32_fp8_fp8 v[100:103], a[124:125], a[4:5], v[100:103]// 000000006EC0: D3F30064 1D92097C
	ds_read_b128 a[56:59], v2 offset:14464                     // 000000006EC8: DBFE3880 38000002
	ds_read_b128 a[60:63], v2 offset:14528                     // 000000006ED0: DBFE38C0 3C000002
	v_mfma_f32_16x16x32_fp8_fp8 v[100:103], a[126:127], a[6:7], v[100:103]// 000000006ED8: D3F30064 1D920D7E
	v_mfma_f32_16x16x32_fp8_fp8 v[104:107], a[120:121], a[8:9], v[104:107]// 000000006EE0: D3F30068 1DA21178
	buffer_load_dwordx4 a[116:119], v70, s[24:27], 0 offen offset:1024// 000000006EE8: E05C1400 80867446
	v_mfma_f32_16x16x32_fp8_fp8 v[104:107], a[122:123], a[10:11], v[104:107]// 000000006EF0: D3F30068 1DA2157A
	v_mfma_f32_16x16x32_fp8_fp8 v[104:107], a[124:125], a[12:13], v[104:107]// 000000006EF8: D3F30068 1DA2197C
	ds_read_b128 a[64:67], v2 offset:14976                     // 000000006F00: DBFE3A80 40000002
	ds_read_b128 a[68:71], v2 offset:15040                     // 000000006F08: DBFE3AC0 44000002
	v_mfma_f32_16x16x32_fp8_fp8 v[104:107], a[126:127], a[14:15], v[104:107]// 000000006F10: D3F30068 1DA21D7E
	v_mfma_f32_16x16x32_fp8_fp8 v[108:111], a[120:121], a[16:17], v[108:111]// 000000006F18: D3F3006C 1DB22178
	v_mfma_f32_16x16x32_fp8_fp8 v[108:111], a[122:123], a[18:19], v[108:111]// 000000006F20: D3F3006C 1DB2257A
	v_mfma_f32_16x16x32_fp8_fp8 v[108:111], a[124:125], a[20:21], v[108:111]// 000000006F28: D3F3006C 1DB2297C
	ds_read_b128 a[72:75], v2 offset:15488                     // 000000006F30: DBFE3C80 48000002
	ds_read_b128 a[76:79], v2 offset:15552                     // 000000006F38: DBFE3CC0 4C000002
	v_mfma_f32_16x16x32_fp8_fp8 v[108:111], a[126:127], a[22:23], v[108:111]// 000000006F40: D3F3006C 1DB22D7E
	v_mfma_f32_16x16x32_fp8_fp8 v[112:115], a[120:121], a[24:25], v[112:115]// 000000006F48: D3F30070 1DC23178
	v_mfma_f32_16x16x32_fp8_fp8 v[112:115], a[122:123], a[26:27], v[112:115]// 000000006F50: D3F30070 1DC2357A
	v_mfma_f32_16x16x32_fp8_fp8 v[112:115], a[124:125], a[28:29], v[112:115]// 000000006F58: D3F30070 1DC2397C
	ds_read_b128 a[80:83], v2 offset:16000                     // 000000006F60: DBFE3E80 50000002
	ds_read_b128 a[84:87], v2 offset:16064                     // 000000006F68: DBFE3EC0 54000002
	v_mfma_f32_16x16x32_fp8_fp8 v[112:115], a[126:127], a[30:31], v[112:115]// 000000006F70: D3F30070 1DC23D7E
	v_mfma_f32_16x16x32_fp8_fp8 v[116:119], a[120:121], a[32:33], v[116:119]// 000000006F78: D3F30074 1DD24178
	v_mfma_f32_16x16x32_fp8_fp8 v[116:119], a[122:123], a[34:35], v[116:119]// 000000006F80: D3F30074 1DD2457A
	v_mfma_f32_16x16x32_fp8_fp8 v[116:119], a[124:125], a[36:37], v[116:119]// 000000006F88: D3F30074 1DD2497C
	ds_read_b128 a[88:91], v2 offset:16512                     // 000000006F90: DBFE4080 58000002
	ds_read_b128 a[92:95], v2 offset:16576                     // 000000006F98: DBFE40C0 5C000002
	v_mfma_f32_16x16x32_fp8_fp8 v[116:119], a[126:127], a[38:39], v[116:119]// 000000006FA0: D3F30074 1DD24D7E
	v_mfma_f32_16x16x32_fp8_fp8 v[120:123], a[120:121], a[40:41], v[120:123]// 000000006FA8: D3F30078 1DE25178
	v_mfma_f32_16x16x32_fp8_fp8 v[120:123], a[122:123], a[42:43], v[120:123]// 000000006FB0: D3F30078 1DE2557A
	v_mfma_f32_16x16x32_fp8_fp8 v[120:123], a[124:125], a[44:45], v[120:123]// 000000006FB8: D3F30078 1DE2597C
	ds_read_b128 a[96:99], v2 offset:17024                     // 000000006FC0: DBFE4280 60000002
	ds_read_b128 a[100:103], v2 offset:17088                   // 000000006FC8: DBFE42C0 64000002
	s_add_u32 s60, 0x180, s80                                  // 000000006FD0: 803C50FF 00000180
	s_cmp_lt_u32 s60, s81                                      // 000000006FD8: BF0A513C
	s_cselect_b32 s57, s57, 0                                  // 000000006FDC: 85398039
	v_mfma_f32_16x16x32_fp8_fp8 v[120:123], a[126:127], a[46:47], v[120:123]// 000000006FE0: D3F30078 1DE25D7E
	s_add_u32 s60, 0x100, s80                                  // 000000006FE8: 803C50FF 00000100
	s_cmp_lt_u32 s60, s81                                      // 000000006FF0: BF0A513C
	s_cselect_b32 s58, s58, 0                                  // 000000006FF4: 853A803A
	v_mfma_f32_16x16x32_fp8_fp8 v[124:127], a[120:121], a[48:49], v[124:127]// 000000006FF8: D3F3007C 1DF26178
	s_add_u32 s24, s58, s24                                    // 000000007000: 8018183A
	s_addc_u32 s25, 0, s25                                     // 000000007004: 82191980
	v_mfma_f32_16x16x32_fp8_fp8 v[124:127], a[122:123], a[50:51], v[124:127]// 000000007008: D3F3007C 1DF2657A
	s_add_u32 s20, s57, s20                                    // 000000007010: 80141439
	s_addc_u32 s21, 0, s21                                     // 000000007014: 82151580
	v_mfma_f32_16x16x32_fp8_fp8 v[124:127], a[124:125], a[52:53], v[124:127]// 000000007018: D3F3007C 1DF2697C
	ds_read_b128 a[104:107], v2 offset:17536                   // 000000007020: DBFE4480 68000002
	ds_read_b128 a[108:111], v2 offset:17600                   // 000000007028: DBFE44C0 6C000002
	s_add_u32 s84, s83, s84                                    // 000000007030: 80545453
	s_addc_u32 s85, 0, s85                                     // 000000007034: 82555580
	v_mfma_f32_16x16x32_fp8_fp8 v[124:127], a[126:127], a[54:55], v[124:127]// 000000007038: D3F3007C 1DF26D7E
	s_addk_i32 s80, 0x80                                       // 000000007040: B7500080
	s_cmp_lt_i32 s80, s81                                      // 000000007044: BF045150
	s_cbranch_scc0 label_127A                                  // 000000007048: BF8400E4
	s_waitcnt vmcnt(0) lgkmcnt(0)                              // 00000000704C: BF8C0070
	s_barrier                                                  // 000000007050: BF8A0000
	v_mfma_f32_16x16x32_fp8_fp8 v[72:75], a[112:113], a[56:57], v[72:75]// 000000007054: D3F30048 1D227170
	buffer_load_dwordx4 a[120:123], v70, s[84:87], 0 offen     // 00000000705C: E05C1000 80957846
	v_mfma_f32_16x16x32_fp8_fp8 v[72:75], a[114:115], a[58:59], v[72:75]// 000000007064: D3F30048 1D227572
	v_mfma_f32_16x16x32_fp8_fp8 v[72:75], a[116:117], a[60:61], v[72:75]// 00000000706C: D3F30048 1D227974
	v_mfma_f32_16x16x32_fp8_fp8 v[72:75], a[118:119], a[62:63], v[72:75]// 000000007074: D3F30048 1D227D76
	v_mfma_f32_16x16x32_fp8_fp8 v[76:79], a[112:113], a[64:65], v[76:79]// 00000000707C: D3F3004C 1D328170
	buffer_load_dwordx4 a[124:127], v70, s[84:87], 0 offen offset:1024// 000000007084: E05C1400 80957C46
	buffer_load_dword v56, s[20:23], 0 offen lds               // 00000000708C: E0511000 80050038
	s_add_u32 m0, 0x100, s49                                   // 000000007094: 807C31FF 00000100
	v_mfma_f32_16x16x32_fp8_fp8 v[76:79], a[114:115], a[66:67], v[76:79]// 00000000709C: D3F3004C 1D328572
	v_mfma_f32_16x16x32_fp8_fp8 v[76:79], a[116:117], a[68:69], v[76:79]// 0000000070A4: D3F3004C 1D328974
	buffer_load_dword v57, s[20:23], 0 offen lds               // 0000000070AC: E0511000 80050039
	s_add_u32 m0, 0x200, s49                                   // 0000000070B4: 807C31FF 00000200
	v_mfma_f32_16x16x32_fp8_fp8 v[76:79], a[118:119], a[70:71], v[76:79]// 0000000070BC: D3F3004C 1D328D76
	v_mfma_f32_16x16x32_fp8_fp8 v[80:83], a[112:113], a[72:73], v[80:83]// 0000000070C4: D3F30050 1D429170
	buffer_load_dword v58, s[20:23], 0 offen lds               // 0000000070CC: E0511000 8005003A
	s_add_u32 m0, 0x300, s49                                   // 0000000070D4: 807C31FF 00000300
	v_mfma_f32_16x16x32_fp8_fp8 v[80:83], a[114:115], a[74:75], v[80:83]// 0000000070DC: D3F30050 1D429572
	v_mfma_f32_16x16x32_fp8_fp8 v[80:83], a[116:117], a[76:77], v[80:83]// 0000000070E4: D3F30050 1D429974
	buffer_load_dword v59, s[20:23], 0 offen lds               // 0000000070EC: E0511000 8005003B
	s_add_u32 m0, 0x400, s49                                   // 0000000070F4: 807C31FF 00000400
	v_mfma_f32_16x16x32_fp8_fp8 v[80:83], a[118:119], a[78:79], v[80:83]// 0000000070FC: D3F30050 1D429D76
	v_mfma_f32_16x16x32_fp8_fp8 v[84:87], a[112:113], a[80:81], v[84:87]// 000000007104: D3F30054 1D52A170
	buffer_load_dword v60, s[20:23], 0 offen lds               // 00000000710C: E0511000 8005003C
	s_add_u32 m0, 0x500, s49                                   // 000000007114: 807C31FF 00000500
	v_mfma_f32_16x16x32_fp8_fp8 v[84:87], a[114:115], a[82:83], v[84:87]// 00000000711C: D3F30054 1D52A572
	v_mfma_f32_16x16x32_fp8_fp8 v[84:87], a[116:117], a[84:85], v[84:87]// 000000007124: D3F30054 1D52A974
	buffer_load_dword v61, s[20:23], 0 offen lds               // 00000000712C: E0511000 8005003D
	s_add_u32 m0, 0x600, s49                                   // 000000007134: 807C31FF 00000600
	v_mfma_f32_16x16x32_fp8_fp8 v[84:87], a[118:119], a[86:87], v[84:87]// 00000000713C: D3F30054 1D52AD76
	v_mfma_f32_16x16x32_fp8_fp8 v[88:91], a[112:113], a[88:89], v[88:91]// 000000007144: D3F30058 1D62B170
	buffer_load_dword v62, s[20:23], 0 offen lds               // 00000000714C: E0511000 8005003E
	s_add_u32 m0, 0x700, s49                                   // 000000007154: 807C31FF 00000700
	v_mfma_f32_16x16x32_fp8_fp8 v[88:91], a[114:115], a[90:91], v[88:91]// 00000000715C: D3F30058 1D62B572
	v_mfma_f32_16x16x32_fp8_fp8 v[88:91], a[116:117], a[92:93], v[88:91]// 000000007164: D3F30058 1D62B974
	buffer_load_dword v63, s[20:23], 0 offen lds               // 00000000716C: E0511000 8005003F
	s_add_u32 m0, 0x800, s49                                   // 000000007174: 807C31FF 00000800
	v_mfma_f32_16x16x32_fp8_fp8 v[88:91], a[118:119], a[94:95], v[88:91]// 00000000717C: D3F30058 1D62BD76
	v_mfma_f32_16x16x32_fp8_fp8 v[92:95], a[112:113], a[96:97], v[92:95]// 000000007184: D3F3005C 1D72C170
	buffer_load_dword v64, s[20:23], 0 offen lds               // 00000000718C: E0511000 80050040
	s_add_u32 m0, 0x900, s49                                   // 000000007194: 807C31FF 00000900
	v_mfma_f32_16x16x32_fp8_fp8 v[92:95], a[114:115], a[98:99], v[92:95]// 00000000719C: D3F3005C 1D72C572
	v_mfma_f32_16x16x32_fp8_fp8 v[92:95], a[116:117], a[100:101], v[92:95]// 0000000071A4: D3F3005C 1D72C974
	buffer_load_dword v65, s[20:23], 0 offen lds               // 0000000071AC: E0511000 80050041
	s_add_u32 m0, 0xa00, s49                                   // 0000000071B4: 807C31FF 00000A00
	v_mfma_f32_16x16x32_fp8_fp8 v[92:95], a[118:119], a[102:103], v[92:95]// 0000000071BC: D3F3005C 1D72CD76
	v_mfma_f32_16x16x32_fp8_fp8 v[96:99], a[112:113], a[104:105], v[96:99]// 0000000071C4: D3F30060 1D82D170
	buffer_load_dword v66, s[20:23], 0 offen lds               // 0000000071CC: E0511000 80050042
	s_add_u32 m0, 0xb00, s49                                   // 0000000071D4: 807C31FF 00000B00
	v_mfma_f32_16x16x32_fp8_fp8 v[96:99], a[114:115], a[106:107], v[96:99]// 0000000071DC: D3F30060 1D82D572
	s_add_u32 s60, 0x80, s80                                   // 0000000071E4: 803C50FF 00000080
	s_cmp_lt_u32 s60, s81                                      // 0000000071EC: BF0A513C
	s_cselect_b32 s83, s83, 0                                  // 0000000071F0: 85538053
	v_mfma_f32_16x16x32_fp8_fp8 v[96:99], a[116:117], a[108:109], v[96:99]// 0000000071F4: D3F30060 1D82D974
	buffer_load_dword v67, s[20:23], 0 offen lds               // 0000000071FC: E0511000 80050043
	s_add_u32 m0, 0xc00, s49                                   // 000000007204: 807C31FF 00000C00
	v_mfma_f32_16x16x32_fp8_fp8 v[96:99], a[118:119], a[110:111], v[96:99]// 00000000720C: D3F30060 1D82DD76
	buffer_load_dword v68, s[20:23], 0 offen lds               // 000000007214: E0511000 80050044
	s_add_u32 m0, 0xd00, s49                                   // 00000000721C: 807C31FF 00000D00
	buffer_load_dword v69, s[20:23], 0 offen lds               // 000000007224: E0511000 80050045
	s_add_u32 m0, 0, s48                                       // 00000000722C: 807C3080
	s_waitcnt vmcnt(14)                                        // 000000007230: BF8C0F7E
	v_mfma_f32_16x16x32_fp8_fp8 v[100:103], a[120:121], a[56:57], v[100:103]// 000000007234: D3F30064 1D927178
	buffer_load_dwordx4 a[112:115], v70, s[24:27], 0 offen     // 00000000723C: E05C1000 80867046
	v_mfma_f32_16x16x32_fp8_fp8 v[100:103], a[122:123], a[58:59], v[100:103]// 000000007244: D3F30064 1D92757A
	v_mfma_f32_16x16x32_fp8_fp8 v[100:103], a[124:125], a[60:61], v[100:103]// 00000000724C: D3F30064 1D92797C
	ds_read_b128 a[0:3], v2                                    // 000000007254: DBFE0000 00000002
	ds_read_b128 a[4:7], v2 offset:64                          // 00000000725C: DBFE0040 04000002
	v_mfma_f32_16x16x32_fp8_fp8 v[100:103], a[126:127], a[62:63], v[100:103]// 000000007264: D3F30064 1D927D7E
	v_mfma_f32_16x16x32_fp8_fp8 v[104:107], a[120:121], a[64:65], v[104:107]// 00000000726C: D3F30068 1DA28178
	buffer_load_dwordx4 a[116:119], v70, s[24:27], 0 offen offset:1024// 000000007274: E05C1400 80867446
	v_mfma_f32_16x16x32_fp8_fp8 v[104:107], a[122:123], a[66:67], v[104:107]// 00000000727C: D3F30068 1DA2857A
	v_mfma_f32_16x16x32_fp8_fp8 v[104:107], a[124:125], a[68:69], v[104:107]// 000000007284: D3F30068 1DA2897C
	ds_read_b128 a[8:11], v2 offset:512                        // 00000000728C: DBFE0200 08000002
	ds_read_b128 a[12:15], v2 offset:576                       // 000000007294: DBFE0240 0C000002
	v_mfma_f32_16x16x32_fp8_fp8 v[104:107], a[126:127], a[70:71], v[104:107]// 00000000729C: D3F30068 1DA28D7E
	v_mfma_f32_16x16x32_fp8_fp8 v[108:111], a[120:121], a[72:73], v[108:111]// 0000000072A4: D3F3006C 1DB29178
	v_mfma_f32_16x16x32_fp8_fp8 v[108:111], a[122:123], a[74:75], v[108:111]// 0000000072AC: D3F3006C 1DB2957A
	v_mfma_f32_16x16x32_fp8_fp8 v[108:111], a[124:125], a[76:77], v[108:111]// 0000000072B4: D3F3006C 1DB2997C
	ds_read_b128 a[16:19], v2 offset:1024                      // 0000000072BC: DBFE0400 10000002
	ds_read_b128 a[20:23], v2 offset:1088                      // 0000000072C4: DBFE0440 14000002
	v_mfma_f32_16x16x32_fp8_fp8 v[108:111], a[126:127], a[78:79], v[108:111]// 0000000072CC: D3F3006C 1DB29D7E
	v_mfma_f32_16x16x32_fp8_fp8 v[112:115], a[120:121], a[80:81], v[112:115]// 0000000072D4: D3F30070 1DC2A178
	v_mfma_f32_16x16x32_fp8_fp8 v[112:115], a[122:123], a[82:83], v[112:115]// 0000000072DC: D3F30070 1DC2A57A
	v_mfma_f32_16x16x32_fp8_fp8 v[112:115], a[124:125], a[84:85], v[112:115]// 0000000072E4: D3F30070 1DC2A97C
	ds_read_b128 a[24:27], v2 offset:1536                      // 0000000072EC: DBFE0600 18000002
	ds_read_b128 a[28:31], v2 offset:1600                      // 0000000072F4: DBFE0640 1C000002
	v_mfma_f32_16x16x32_fp8_fp8 v[112:115], a[126:127], a[86:87], v[112:115]// 0000000072FC: D3F30070 1DC2AD7E
	v_mfma_f32_16x16x32_fp8_fp8 v[116:119], a[120:121], a[88:89], v[116:119]// 000000007304: D3F30074 1DD2B178
	v_mfma_f32_16x16x32_fp8_fp8 v[116:119], a[122:123], a[90:91], v[116:119]// 00000000730C: D3F30074 1DD2B57A
	v_mfma_f32_16x16x32_fp8_fp8 v[116:119], a[124:125], a[92:93], v[116:119]// 000000007314: D3F30074 1DD2B97C
	ds_read_b128 a[32:35], v2 offset:2048                      // 00000000731C: DBFE0800 20000002
	ds_read_b128 a[36:39], v2 offset:2112                      // 000000007324: DBFE0840 24000002
	v_mfma_f32_16x16x32_fp8_fp8 v[116:119], a[126:127], a[94:95], v[116:119]// 00000000732C: D3F30074 1DD2BD7E
	v_mfma_f32_16x16x32_fp8_fp8 v[120:123], a[120:121], a[96:97], v[120:123]// 000000007334: D3F30078 1DE2C178
	v_mfma_f32_16x16x32_fp8_fp8 v[120:123], a[122:123], a[98:99], v[120:123]// 00000000733C: D3F30078 1DE2C57A
	v_mfma_f32_16x16x32_fp8_fp8 v[120:123], a[124:125], a[100:101], v[120:123]// 000000007344: D3F30078 1DE2C97C
	ds_read_b128 a[40:43], v2 offset:2560                      // 00000000734C: DBFE0A00 28000002
	ds_read_b128 a[44:47], v2 offset:2624                      // 000000007354: DBFE0A40 2C000002
	s_add_u32 s60, 0x180, s80                                  // 00000000735C: 803C50FF 00000180
	s_cmp_lt_u32 s60, s81                                      // 000000007364: BF0A513C
	s_cselect_b32 s57, s57, 0                                  // 000000007368: 85398039
	v_mfma_f32_16x16x32_fp8_fp8 v[120:123], a[126:127], a[102:103], v[120:123]// 00000000736C: D3F30078 1DE2CD7E
	s_add_u32 s60, 0x100, s80                                  // 000000007374: 803C50FF 00000100
	s_cmp_lt_u32 s60, s81                                      // 00000000737C: BF0A513C
	s_cselect_b32 s58, s58, 0                                  // 000000007380: 853A803A
	v_mfma_f32_16x16x32_fp8_fp8 v[124:127], a[120:121], a[104:105], v[124:127]// 000000007384: D3F3007C 1DF2D178
	s_add_u32 s24, s58, s24                                    // 00000000738C: 8018183A
	s_addc_u32 s25, 0, s25                                     // 000000007390: 82191980
	v_mfma_f32_16x16x32_fp8_fp8 v[124:127], a[122:123], a[106:107], v[124:127]// 000000007394: D3F3007C 1DF2D57A
	s_add_u32 s20, s57, s20                                    // 00000000739C: 80141439
	s_addc_u32 s21, 0, s21                                     // 0000000073A0: 82151580
	v_mfma_f32_16x16x32_fp8_fp8 v[124:127], a[124:125], a[108:109], v[124:127]// 0000000073A4: D3F3007C 1DF2D97C
	ds_read_b128 a[48:51], v2 offset:3072                      // 0000000073AC: DBFE0C00 30000002
	ds_read_b128 a[52:55], v2 offset:3136                      // 0000000073B4: DBFE0C40 34000002
	s_add_u32 s84, s83, s84                                    // 0000000073BC: 80545453
	s_addc_u32 s85, 0, s85                                     // 0000000073C0: 82555580
	v_mfma_f32_16x16x32_fp8_fp8 v[124:127], a[126:127], a[110:111], v[124:127]// 0000000073C4: D3F3007C 1DF2DD7E
	s_addk_i32 s80, 0x80                                       // 0000000073CC: B7500080
	s_cmp_lt_i32 s80, s81                                      // 0000000073D0: BF045150
	s_cbranch_scc0 label_127A                                  // 0000000073D4: BF840001
	s_branch label_10B3                                        // 0000000073D8: BF82FE39

00000000000073dc <label_127A>:
	v_mul_f32_dpp v72, v24, v72 row_newbcast:0 row_mask:0xf bank_mask:0xf// 0000000073DC: 0A9090FA FF015018
	v_mul_f32_dpp v73, v24, v73 row_newbcast:1 row_mask:0xf bank_mask:0xf// 0000000073E4: 0A9292FA FF015118
	v_mul_f32_dpp v74, v24, v74 row_newbcast:2 row_mask:0xf bank_mask:0xf// 0000000073EC: 0A9494FA FF015218
	v_mul_f32_dpp v75, v24, v75 row_newbcast:3 row_mask:0xf bank_mask:0xf// 0000000073F4: 0A9696FA FF015318
	v_mul_f32_dpp v76, v24, v76 row_newbcast:0 row_mask:0xf bank_mask:0xf// 0000000073FC: 0A9898FA FF015018
	v_mul_f32_dpp v77, v24, v77 row_newbcast:1 row_mask:0xf bank_mask:0xf// 000000007404: 0A9A9AFA FF015118
	v_mul_f32_dpp v78, v24, v78 row_newbcast:2 row_mask:0xf bank_mask:0xf// 00000000740C: 0A9C9CFA FF015218
	v_mul_f32_dpp v79, v24, v79 row_newbcast:3 row_mask:0xf bank_mask:0xf// 000000007414: 0A9E9EFA FF015318
	v_mul_f32_dpp v80, v24, v80 row_newbcast:0 row_mask:0xf bank_mask:0xf// 00000000741C: 0AA0A0FA FF015018
	v_mul_f32_dpp v81, v24, v81 row_newbcast:1 row_mask:0xf bank_mask:0xf// 000000007424: 0AA2A2FA FF015118
	v_mul_f32_dpp v82, v24, v82 row_newbcast:2 row_mask:0xf bank_mask:0xf// 00000000742C: 0AA4A4FA FF015218
	v_mul_f32_dpp v83, v24, v83 row_newbcast:3 row_mask:0xf bank_mask:0xf// 000000007434: 0AA6A6FA FF015318
	v_mul_f32_dpp v84, v24, v84 row_newbcast:0 row_mask:0xf bank_mask:0xf// 00000000743C: 0AA8A8FA FF015018
	v_mul_f32_dpp v85, v24, v85 row_newbcast:1 row_mask:0xf bank_mask:0xf// 000000007444: 0AAAAAFA FF015118
	v_mul_f32_dpp v86, v24, v86 row_newbcast:2 row_mask:0xf bank_mask:0xf// 00000000744C: 0AACACFA FF015218
	v_mul_f32_dpp v87, v24, v87 row_newbcast:3 row_mask:0xf bank_mask:0xf// 000000007454: 0AAEAEFA FF015318
	v_mul_f32_dpp v88, v24, v88 row_newbcast:0 row_mask:0xf bank_mask:0xf// 00000000745C: 0AB0B0FA FF015018
	v_mul_f32_dpp v89, v24, v89 row_newbcast:1 row_mask:0xf bank_mask:0xf// 000000007464: 0AB2B2FA FF015118
	v_mul_f32_dpp v90, v24, v90 row_newbcast:2 row_mask:0xf bank_mask:0xf// 00000000746C: 0AB4B4FA FF015218
	v_mul_f32_dpp v91, v24, v91 row_newbcast:3 row_mask:0xf bank_mask:0xf// 000000007474: 0AB6B6FA FF015318
	v_mul_f32_dpp v92, v24, v92 row_newbcast:0 row_mask:0xf bank_mask:0xf// 00000000747C: 0AB8B8FA FF015018
	v_mul_f32_dpp v93, v24, v93 row_newbcast:1 row_mask:0xf bank_mask:0xf// 000000007484: 0ABABAFA FF015118
	v_mul_f32_dpp v94, v24, v94 row_newbcast:2 row_mask:0xf bank_mask:0xf// 00000000748C: 0ABCBCFA FF015218
	v_mul_f32_dpp v95, v24, v95 row_newbcast:3 row_mask:0xf bank_mask:0xf// 000000007494: 0ABEBEFA FF015318
	v_mul_f32_dpp v96, v24, v96 row_newbcast:0 row_mask:0xf bank_mask:0xf// 00000000749C: 0AC0C0FA FF015018
	v_mul_f32_dpp v97, v24, v97 row_newbcast:1 row_mask:0xf bank_mask:0xf// 0000000074A4: 0AC2C2FA FF015118
	v_mul_f32_dpp v98, v24, v98 row_newbcast:2 row_mask:0xf bank_mask:0xf// 0000000074AC: 0AC4C4FA FF015218
	v_mul_f32_dpp v99, v24, v99 row_newbcast:3 row_mask:0xf bank_mask:0xf// 0000000074B4: 0AC6C6FA FF015318
	v_mul_f32_dpp v100, v26, v100 row_newbcast:0 row_mask:0xf bank_mask:0xf// 0000000074BC: 0AC8C8FA FF01501A
	v_mul_f32_dpp v101, v26, v101 row_newbcast:1 row_mask:0xf bank_mask:0xf// 0000000074C4: 0ACACAFA FF01511A
	v_mul_f32_dpp v102, v26, v102 row_newbcast:2 row_mask:0xf bank_mask:0xf// 0000000074CC: 0ACCCCFA FF01521A
	v_mul_f32_dpp v103, v26, v103 row_newbcast:3 row_mask:0xf bank_mask:0xf// 0000000074D4: 0ACECEFA FF01531A
	v_mul_f32_dpp v104, v26, v104 row_newbcast:0 row_mask:0xf bank_mask:0xf// 0000000074DC: 0AD0D0FA FF01501A
	v_mul_f32_dpp v105, v26, v105 row_newbcast:1 row_mask:0xf bank_mask:0xf// 0000000074E4: 0AD2D2FA FF01511A
	v_mul_f32_dpp v106, v26, v106 row_newbcast:2 row_mask:0xf bank_mask:0xf// 0000000074EC: 0AD4D4FA FF01521A
	v_mul_f32_dpp v107, v26, v107 row_newbcast:3 row_mask:0xf bank_mask:0xf// 0000000074F4: 0AD6D6FA FF01531A
	v_mul_f32_dpp v108, v26, v108 row_newbcast:0 row_mask:0xf bank_mask:0xf// 0000000074FC: 0AD8D8FA FF01501A
	v_mul_f32_dpp v109, v26, v109 row_newbcast:1 row_mask:0xf bank_mask:0xf// 000000007504: 0ADADAFA FF01511A
	v_mul_f32_dpp v110, v26, v110 row_newbcast:2 row_mask:0xf bank_mask:0xf// 00000000750C: 0ADCDCFA FF01521A
	v_mul_f32_dpp v111, v26, v111 row_newbcast:3 row_mask:0xf bank_mask:0xf// 000000007514: 0ADEDEFA FF01531A
	v_mul_f32_dpp v112, v26, v112 row_newbcast:0 row_mask:0xf bank_mask:0xf// 00000000751C: 0AE0E0FA FF01501A
	v_mul_f32_dpp v113, v26, v113 row_newbcast:1 row_mask:0xf bank_mask:0xf// 000000007524: 0AE2E2FA FF01511A
	v_mul_f32_dpp v114, v26, v114 row_newbcast:2 row_mask:0xf bank_mask:0xf// 00000000752C: 0AE4E4FA FF01521A
	v_mul_f32_dpp v115, v26, v115 row_newbcast:3 row_mask:0xf bank_mask:0xf// 000000007534: 0AE6E6FA FF01531A
	v_mul_f32_dpp v116, v26, v116 row_newbcast:0 row_mask:0xf bank_mask:0xf// 00000000753C: 0AE8E8FA FF01501A
	v_mul_f32_dpp v117, v26, v117 row_newbcast:1 row_mask:0xf bank_mask:0xf// 000000007544: 0AEAEAFA FF01511A
	v_mul_f32_dpp v118, v26, v118 row_newbcast:2 row_mask:0xf bank_mask:0xf// 00000000754C: 0AECECFA FF01521A
	v_mul_f32_dpp v119, v26, v119 row_newbcast:3 row_mask:0xf bank_mask:0xf// 000000007554: 0AEEEEFA FF01531A
	v_mul_f32_dpp v120, v26, v120 row_newbcast:0 row_mask:0xf bank_mask:0xf// 00000000755C: 0AF0F0FA FF01501A
	v_mul_f32_dpp v121, v26, v121 row_newbcast:1 row_mask:0xf bank_mask:0xf// 000000007564: 0AF2F2FA FF01511A
	v_mul_f32_dpp v122, v26, v122 row_newbcast:2 row_mask:0xf bank_mask:0xf// 00000000756C: 0AF4F4FA FF01521A
	v_mul_f32_dpp v123, v26, v123 row_newbcast:3 row_mask:0xf bank_mask:0xf// 000000007574: 0AF6F6FA FF01531A
	v_mul_f32_dpp v124, v26, v124 row_newbcast:0 row_mask:0xf bank_mask:0xf// 00000000757C: 0AF8F8FA FF01501A
	v_mul_f32_dpp v125, v26, v125 row_newbcast:1 row_mask:0xf bank_mask:0xf// 000000007584: 0AFAFAFA FF01511A
	v_mul_f32_dpp v126, v26, v126 row_newbcast:2 row_mask:0xf bank_mask:0xf// 00000000758C: 0AFCFCFA FF01521A
	v_mul_f32_dpp v127, v26, v127 row_newbcast:3 row_mask:0xf bank_mask:0xf// 000000007594: 0AFEFEFA FF01531A
	v_mov_b32_e32 v4, v35                                      // 00000000759C: 7E080323
	v_mov_b32_e32 v5, v4                                       // 0000000075A0: 7E0A0304
	v_pk_mul_f32 v[72:73], v[4:5], v[72:73]                    // 0000000075A4: D3B14048 18029104
	v_pk_mul_f32 v[100:101], v[4:5], v[100:101]                // 0000000075AC: D3B14064 1802C904
	v_pk_mul_f32 v[74:75], v[4:5], v[74:75]                    // 0000000075B4: D3B1404A 18029504
	v_pk_mul_f32 v[102:103], v[4:5], v[102:103]                // 0000000075BC: D3B14066 1802CD04
	v_mov_b32_e32 v4, v36                                      // 0000000075C4: 7E080324
	v_mov_b32_e32 v5, v4                                       // 0000000075C8: 7E0A0304
	v_pk_mul_f32 v[76:77], v[4:5], v[76:77]                    // 0000000075CC: D3B1404C 18029904
	v_pk_mul_f32 v[104:105], v[4:5], v[104:105]                // 0000000075D4: D3B14068 1802D104
	v_pk_mul_f32 v[78:79], v[4:5], v[78:79]                    // 0000000075DC: D3B1404E 18029D04
	v_pk_mul_f32 v[106:107], v[4:5], v[106:107]                // 0000000075E4: D3B1406A 1802D504
	v_mov_b32_e32 v4, v37                                      // 0000000075EC: 7E080325
	v_mov_b32_e32 v5, v4                                       // 0000000075F0: 7E0A0304
	v_pk_mul_f32 v[80:81], v[4:5], v[80:81]                    // 0000000075F4: D3B14050 1802A104
	v_pk_mul_f32 v[108:109], v[4:5], v[108:109]                // 0000000075FC: D3B1406C 1802D904
	v_pk_mul_f32 v[82:83], v[4:5], v[82:83]                    // 000000007604: D3B14052 1802A504
	v_pk_mul_f32 v[110:111], v[4:5], v[110:111]                // 00000000760C: D3B1406E 1802DD04
	v_mov_b32_e32 v4, v38                                      // 000000007614: 7E080326
	v_mov_b32_e32 v5, v4                                       // 000000007618: 7E0A0304
	v_pk_mul_f32 v[84:85], v[4:5], v[84:85]                    // 00000000761C: D3B14054 1802A904
	v_pk_mul_f32 v[112:113], v[4:5], v[112:113]                // 000000007624: D3B14070 1802E104
	v_pk_mul_f32 v[86:87], v[4:5], v[86:87]                    // 00000000762C: D3B14056 1802AD04
	v_pk_mul_f32 v[114:115], v[4:5], v[114:115]                // 000000007634: D3B14072 1802E504
	v_mov_b32_e32 v4, v39                                      // 00000000763C: 7E080327
	v_mov_b32_e32 v5, v4                                       // 000000007640: 7E0A0304
	v_pk_mul_f32 v[88:89], v[4:5], v[88:89]                    // 000000007644: D3B14058 1802B104
	v_pk_mul_f32 v[116:117], v[4:5], v[116:117]                // 00000000764C: D3B14074 1802E904
	v_pk_mul_f32 v[90:91], v[4:5], v[90:91]                    // 000000007654: D3B1405A 1802B504
	v_pk_mul_f32 v[118:119], v[4:5], v[118:119]                // 00000000765C: D3B14076 1802ED04
	v_mov_b32_e32 v4, v40                                      // 000000007664: 7E080328
	v_mov_b32_e32 v5, v4                                       // 000000007668: 7E0A0304
	v_pk_mul_f32 v[92:93], v[4:5], v[92:93]                    // 00000000766C: D3B1405C 1802B904
	v_pk_mul_f32 v[120:121], v[4:5], v[120:121]                // 000000007674: D3B14078 1802F104
	v_pk_mul_f32 v[94:95], v[4:5], v[94:95]                    // 00000000767C: D3B1405E 1802BD04
	v_pk_mul_f32 v[122:123], v[4:5], v[122:123]                // 000000007684: D3B1407A 1802F504
	v_mov_b32_e32 v4, v41                                      // 00000000768C: 7E080329
	v_mov_b32_e32 v5, v4                                       // 000000007690: 7E0A0304
	v_pk_mul_f32 v[96:97], v[4:5], v[96:97]                    // 000000007694: D3B14060 1802C104
	v_pk_mul_f32 v[124:125], v[4:5], v[124:125]                // 00000000769C: D3B1407C 1802F904
	v_pk_mul_f32 v[98:99], v[4:5], v[98:99]                    // 0000000076A4: D3B14062 1802C504
	v_pk_mul_f32 v[126:127], v[4:5], v[126:127]                // 0000000076AC: D3B1407E 1802FD04
	s_cmp_eq_u32 s88, 0                                        // 0000000076B4: BF068058
	s_cbranch_scc0 label_1869                                  // 0000000076B8: BF840537
	s_cmp_eq_u32 s89, 0                                        // 0000000076BC: BF068059
	s_cbranch_scc1 label_1451                                  // 0000000076C0: BF85011D
	v_mov_b32_e32 v8, v1                                       // 0000000076C4: 7E100301
	v_mov_b32_e32 v9, v1                                       // 0000000076C8: 7E120301
	s_mov_b32 s60, s6                                          // 0000000076CC: BEBC0006
	s_mov_b32 s61, s6                                          // 0000000076D0: BEBD0006
	v_pk_mul_f32 v[4:5], v[72:73], v[72:73]                    // 0000000076D4: D3B14004 18029148
	v_pk_mul_f32 v[6:7], v[74:75], v[74:75]                    // 0000000076DC: D3B14006 1802954A
	v_pk_fma_f32 v[4:5], v[4:5], s[78:79], v[8:9]              // 0000000076E4: D3B04004 1C209D04
	v_pk_fma_f32 v[6:7], v[6:7], s[78:79], v[8:9]              // 0000000076EC: D3B04006 1C209D06
	v_pk_mul_f32 v[4:5], v[4:5], v[72:73]                      // 0000000076F4: D3B14004 18029104
	v_pk_mul_f32 v[6:7], v[6:7], v[74:75]                      // 0000000076FC: D3B14006 18029506
	v_pk_mul_f32 v[4:5], v[4:5], s[60:61]                      // 000000007704: D3B14004 18007904
	v_pk_mul_f32 v[6:7], v[6:7], s[60:61]                      // 00000000770C: D3B14006 18007906
	v_exp_f32_e32 v4, v4                                       // 000000007714: 7E084104
	v_exp_f32_e32 v5, v5                                       // 000000007718: 7E0A4105
	v_exp_f32_e32 v6, v6                                       // 00000000771C: 7E0C4106
	v_exp_f32_e32 v7, v7                                       // 000000007720: 7E0E4107
	v_add_f32_e64 v4, v4, 1.0                                  // 000000007724: D1010004 0001E504
	v_add_f32_e64 v5, v5, 1.0                                  // 00000000772C: D1010005 0001E505
	v_add_f32_e64 v6, v6, 1.0                                  // 000000007734: D1010006 0001E506
	v_add_f32_e64 v7, v7, 1.0                                  // 00000000773C: D1010007 0001E507
	v_rcp_f32_e32 v4, v4                                       // 000000007744: 7E084504
	v_rcp_f32_e32 v5, v5                                       // 000000007748: 7E0A4505
	v_rcp_f32_e32 v6, v6                                       // 00000000774C: 7E0C4506
	v_rcp_f32_e32 v7, v7                                       // 000000007750: 7E0E4507
	v_mul_f32_e32 v72, v72, v4                                 // 000000007754: 0A900948
	v_mul_f32_e32 v73, v73, v5                                 // 000000007758: 0A920B49
	v_mul_f32_e32 v74, v74, v6                                 // 00000000775C: 0A940D4A
	v_mul_f32_e32 v75, v75, v7                                 // 000000007760: 0A960F4B
	v_mul_f32_e32 v72, v72, v100                               // 000000007764: 0A90C948
	v_mul_f32_e32 v73, v73, v101                               // 000000007768: 0A92CB49
	v_mul_f32_e32 v74, v74, v102                               // 00000000776C: 0A94CD4A
	v_mul_f32_e32 v75, v75, v103                               // 000000007770: 0A96CF4B
	v_pk_mul_f32 v[4:5], v[76:77], v[76:77]                    // 000000007774: D3B14004 1802994C
	v_pk_mul_f32 v[6:7], v[78:79], v[78:79]                    // 00000000777C: D3B14006 18029D4E
	v_pk_fma_f32 v[4:5], v[4:5], s[78:79], v[8:9]              // 000000007784: D3B04004 1C209D04
	v_pk_fma_f32 v[6:7], v[6:7], s[78:79], v[8:9]              // 00000000778C: D3B04006 1C209D06
	v_pk_mul_f32 v[4:5], v[4:5], v[76:77]                      // 000000007794: D3B14004 18029904
	v_pk_mul_f32 v[6:7], v[6:7], v[78:79]                      // 00000000779C: D3B14006 18029D06
	v_pk_mul_f32 v[4:5], v[4:5], s[60:61]                      // 0000000077A4: D3B14004 18007904
	v_pk_mul_f32 v[6:7], v[6:7], s[60:61]                      // 0000000077AC: D3B14006 18007906
	v_exp_f32_e32 v4, v4                                       // 0000000077B4: 7E084104
	v_exp_f32_e32 v5, v5                                       // 0000000077B8: 7E0A4105
	v_exp_f32_e32 v6, v6                                       // 0000000077BC: 7E0C4106
	v_exp_f32_e32 v7, v7                                       // 0000000077C0: 7E0E4107
	v_add_f32_e64 v4, v4, 1.0                                  // 0000000077C4: D1010004 0001E504
	v_add_f32_e64 v5, v5, 1.0                                  // 0000000077CC: D1010005 0001E505
	v_add_f32_e64 v6, v6, 1.0                                  // 0000000077D4: D1010006 0001E506
	v_add_f32_e64 v7, v7, 1.0                                  // 0000000077DC: D1010007 0001E507
	v_rcp_f32_e32 v4, v4                                       // 0000000077E4: 7E084504
	v_rcp_f32_e32 v5, v5                                       // 0000000077E8: 7E0A4505
	v_rcp_f32_e32 v6, v6                                       // 0000000077EC: 7E0C4506
	v_rcp_f32_e32 v7, v7                                       // 0000000077F0: 7E0E4507
	v_mul_f32_e32 v76, v76, v4                                 // 0000000077F4: 0A98094C
	v_mul_f32_e32 v77, v77, v5                                 // 0000000077F8: 0A9A0B4D
	v_mul_f32_e32 v78, v78, v6                                 // 0000000077FC: 0A9C0D4E
	v_mul_f32_e32 v79, v79, v7                                 // 000000007800: 0A9E0F4F
	v_mul_f32_e32 v76, v76, v104                               // 000000007804: 0A98D14C
	v_mul_f32_e32 v77, v77, v105                               // 000000007808: 0A9AD34D
	v_mul_f32_e32 v78, v78, v106                               // 00000000780C: 0A9CD54E
	v_mul_f32_e32 v79, v79, v107                               // 000000007810: 0A9ED74F
	v_pk_mul_f32 v[4:5], v[80:81], v[80:81]                    // 000000007814: D3B14004 1802A150
	v_pk_mul_f32 v[6:7], v[82:83], v[82:83]                    // 00000000781C: D3B14006 1802A552
	v_pk_fma_f32 v[4:5], v[4:5], s[78:79], v[8:9]              // 000000007824: D3B04004 1C209D04
	v_pk_fma_f32 v[6:7], v[6:7], s[78:79], v[8:9]              // 00000000782C: D3B04006 1C209D06
	v_pk_mul_f32 v[4:5], v[4:5], v[80:81]                      // 000000007834: D3B14004 1802A104
	v_pk_mul_f32 v[6:7], v[6:7], v[82:83]                      // 00000000783C: D3B14006 1802A506
	v_pk_mul_f32 v[4:5], v[4:5], s[60:61]                      // 000000007844: D3B14004 18007904
	v_pk_mul_f32 v[6:7], v[6:7], s[60:61]                      // 00000000784C: D3B14006 18007906
	v_exp_f32_e32 v4, v4                                       // 000000007854: 7E084104
	v_exp_f32_e32 v5, v5                                       // 000000007858: 7E0A4105
	v_exp_f32_e32 v6, v6                                       // 00000000785C: 7E0C4106
	v_exp_f32_e32 v7, v7                                       // 000000007860: 7E0E4107
	v_add_f32_e64 v4, v4, 1.0                                  // 000000007864: D1010004 0001E504
	v_add_f32_e64 v5, v5, 1.0                                  // 00000000786C: D1010005 0001E505
	v_add_f32_e64 v6, v6, 1.0                                  // 000000007874: D1010006 0001E506
	v_add_f32_e64 v7, v7, 1.0                                  // 00000000787C: D1010007 0001E507
	v_rcp_f32_e32 v4, v4                                       // 000000007884: 7E084504
	v_rcp_f32_e32 v5, v5                                       // 000000007888: 7E0A4505
	v_rcp_f32_e32 v6, v6                                       // 00000000788C: 7E0C4506
	v_rcp_f32_e32 v7, v7                                       // 000000007890: 7E0E4507
	v_mul_f32_e32 v80, v80, v4                                 // 000000007894: 0AA00950
	v_mul_f32_e32 v81, v81, v5                                 // 000000007898: 0AA20B51
	v_mul_f32_e32 v82, v82, v6                                 // 00000000789C: 0AA40D52
	v_mul_f32_e32 v83, v83, v7                                 // 0000000078A0: 0AA60F53
	v_mul_f32_e32 v80, v80, v108                               // 0000000078A4: 0AA0D950
	v_mul_f32_e32 v81, v81, v109                               // 0000000078A8: 0AA2DB51
	v_mul_f32_e32 v82, v82, v110                               // 0000000078AC: 0AA4DD52
	v_mul_f32_e32 v83, v83, v111                               // 0000000078B0: 0AA6DF53
	v_pk_mul_f32 v[4:5], v[84:85], v[84:85]                    // 0000000078B4: D3B14004 1802A954
	v_pk_mul_f32 v[6:7], v[86:87], v[86:87]                    // 0000000078BC: D3B14006 1802AD56
	v_pk_fma_f32 v[4:5], v[4:5], s[78:79], v[8:9]              // 0000000078C4: D3B04004 1C209D04
	v_pk_fma_f32 v[6:7], v[6:7], s[78:79], v[8:9]              // 0000000078CC: D3B04006 1C209D06
	v_pk_mul_f32 v[4:5], v[4:5], v[84:85]                      // 0000000078D4: D3B14004 1802A904
	v_pk_mul_f32 v[6:7], v[6:7], v[86:87]                      // 0000000078DC: D3B14006 1802AD06
	v_pk_mul_f32 v[4:5], v[4:5], s[60:61]                      // 0000000078E4: D3B14004 18007904
	v_pk_mul_f32 v[6:7], v[6:7], s[60:61]                      // 0000000078EC: D3B14006 18007906
	v_exp_f32_e32 v4, v4                                       // 0000000078F4: 7E084104
	v_exp_f32_e32 v5, v5                                       // 0000000078F8: 7E0A4105
	v_exp_f32_e32 v6, v6                                       // 0000000078FC: 7E0C4106
	v_exp_f32_e32 v7, v7                                       // 000000007900: 7E0E4107
	v_add_f32_e64 v4, v4, 1.0                                  // 000000007904: D1010004 0001E504
	v_add_f32_e64 v5, v5, 1.0                                  // 00000000790C: D1010005 0001E505
	v_add_f32_e64 v6, v6, 1.0                                  // 000000007914: D1010006 0001E506
	v_add_f32_e64 v7, v7, 1.0                                  // 00000000791C: D1010007 0001E507
	v_rcp_f32_e32 v4, v4                                       // 000000007924: 7E084504
	v_rcp_f32_e32 v5, v5                                       // 000000007928: 7E0A4505
	v_rcp_f32_e32 v6, v6                                       // 00000000792C: 7E0C4506
	v_rcp_f32_e32 v7, v7                                       // 000000007930: 7E0E4507
	v_mul_f32_e32 v84, v84, v4                                 // 000000007934: 0AA80954
	v_mul_f32_e32 v85, v85, v5                                 // 000000007938: 0AAA0B55
	v_mul_f32_e32 v86, v86, v6                                 // 00000000793C: 0AAC0D56
	v_mul_f32_e32 v87, v87, v7                                 // 000000007940: 0AAE0F57
	v_mul_f32_e32 v84, v84, v112                               // 000000007944: 0AA8E154
	v_mul_f32_e32 v85, v85, v113                               // 000000007948: 0AAAE355
	v_mul_f32_e32 v86, v86, v114                               // 00000000794C: 0AACE556
	v_mul_f32_e32 v87, v87, v115                               // 000000007950: 0AAEE757
	v_pk_mul_f32 v[4:5], v[88:89], v[88:89]                    // 000000007954: D3B14004 1802B158
	v_pk_mul_f32 v[6:7], v[90:91], v[90:91]                    // 00000000795C: D3B14006 1802B55A
	v_pk_fma_f32 v[4:5], v[4:5], s[78:79], v[8:9]              // 000000007964: D3B04004 1C209D04
	v_pk_fma_f32 v[6:7], v[6:7], s[78:79], v[8:9]              // 00000000796C: D3B04006 1C209D06
	v_pk_mul_f32 v[4:5], v[4:5], v[88:89]                      // 000000007974: D3B14004 1802B104
	v_pk_mul_f32 v[6:7], v[6:7], v[90:91]                      // 00000000797C: D3B14006 1802B506
	v_pk_mul_f32 v[4:5], v[4:5], s[60:61]                      // 000000007984: D3B14004 18007904
	v_pk_mul_f32 v[6:7], v[6:7], s[60:61]                      // 00000000798C: D3B14006 18007906
	v_exp_f32_e32 v4, v4                                       // 000000007994: 7E084104
	v_exp_f32_e32 v5, v5                                       // 000000007998: 7E0A4105
	v_exp_f32_e32 v6, v6                                       // 00000000799C: 7E0C4106
	v_exp_f32_e32 v7, v7                                       // 0000000079A0: 7E0E4107
	v_add_f32_e64 v4, v4, 1.0                                  // 0000000079A4: D1010004 0001E504
	v_add_f32_e64 v5, v5, 1.0                                  // 0000000079AC: D1010005 0001E505
	v_add_f32_e64 v6, v6, 1.0                                  // 0000000079B4: D1010006 0001E506
	v_add_f32_e64 v7, v7, 1.0                                  // 0000000079BC: D1010007 0001E507
	v_rcp_f32_e32 v4, v4                                       // 0000000079C4: 7E084504
	v_rcp_f32_e32 v5, v5                                       // 0000000079C8: 7E0A4505
	v_rcp_f32_e32 v6, v6                                       // 0000000079CC: 7E0C4506
	v_rcp_f32_e32 v7, v7                                       // 0000000079D0: 7E0E4507
	v_mul_f32_e32 v88, v88, v4                                 // 0000000079D4: 0AB00958
	v_mul_f32_e32 v89, v89, v5                                 // 0000000079D8: 0AB20B59
	v_mul_f32_e32 v90, v90, v6                                 // 0000000079DC: 0AB40D5A
	v_mul_f32_e32 v91, v91, v7                                 // 0000000079E0: 0AB60F5B
	v_mul_f32_e32 v88, v88, v116                               // 0000000079E4: 0AB0E958
	v_mul_f32_e32 v89, v89, v117                               // 0000000079E8: 0AB2EB59
	v_mul_f32_e32 v90, v90, v118                               // 0000000079EC: 0AB4ED5A
	v_mul_f32_e32 v91, v91, v119                               // 0000000079F0: 0AB6EF5B
	v_pk_mul_f32 v[4:5], v[92:93], v[92:93]                    // 0000000079F4: D3B14004 1802B95C
	v_pk_mul_f32 v[6:7], v[94:95], v[94:95]                    // 0000000079FC: D3B14006 1802BD5E
	v_pk_fma_f32 v[4:5], v[4:5], s[78:79], v[8:9]              // 000000007A04: D3B04004 1C209D04
	v_pk_fma_f32 v[6:7], v[6:7], s[78:79], v[8:9]              // 000000007A0C: D3B04006 1C209D06
	v_pk_mul_f32 v[4:5], v[4:5], v[92:93]                      // 000000007A14: D3B14004 1802B904
	v_pk_mul_f32 v[6:7], v[6:7], v[94:95]                      // 000000007A1C: D3B14006 1802BD06
	v_pk_mul_f32 v[4:5], v[4:5], s[60:61]                      // 000000007A24: D3B14004 18007904
	v_pk_mul_f32 v[6:7], v[6:7], s[60:61]                      // 000000007A2C: D3B14006 18007906
	v_exp_f32_e32 v4, v4                                       // 000000007A34: 7E084104
	v_exp_f32_e32 v5, v5                                       // 000000007A38: 7E0A4105
	v_exp_f32_e32 v6, v6                                       // 000000007A3C: 7E0C4106
	v_exp_f32_e32 v7, v7                                       // 000000007A40: 7E0E4107
	v_add_f32_e64 v4, v4, 1.0                                  // 000000007A44: D1010004 0001E504
	v_add_f32_e64 v5, v5, 1.0                                  // 000000007A4C: D1010005 0001E505
	v_add_f32_e64 v6, v6, 1.0                                  // 000000007A54: D1010006 0001E506
	v_add_f32_e64 v7, v7, 1.0                                  // 000000007A5C: D1010007 0001E507
	v_rcp_f32_e32 v4, v4                                       // 000000007A64: 7E084504
	v_rcp_f32_e32 v5, v5                                       // 000000007A68: 7E0A4505
	v_rcp_f32_e32 v6, v6                                       // 000000007A6C: 7E0C4506
	v_rcp_f32_e32 v7, v7                                       // 000000007A70: 7E0E4507
	v_mul_f32_e32 v92, v92, v4                                 // 000000007A74: 0AB8095C
	v_mul_f32_e32 v93, v93, v5                                 // 000000007A78: 0ABA0B5D
	v_mul_f32_e32 v94, v94, v6                                 // 000000007A7C: 0ABC0D5E
	v_mul_f32_e32 v95, v95, v7                                 // 000000007A80: 0ABE0F5F
	v_mul_f32_e32 v92, v92, v120                               // 000000007A84: 0AB8F15C
	v_mul_f32_e32 v93, v93, v121                               // 000000007A88: 0ABAF35D
	v_mul_f32_e32 v94, v94, v122                               // 000000007A8C: 0ABCF55E
	v_mul_f32_e32 v95, v95, v123                               // 000000007A90: 0ABEF75F
	v_pk_mul_f32 v[4:5], v[96:97], v[96:97]                    // 000000007A94: D3B14004 1802C160
	v_pk_mul_f32 v[6:7], v[98:99], v[98:99]                    // 000000007A9C: D3B14006 1802C562
	v_pk_fma_f32 v[4:5], v[4:5], s[78:79], v[8:9]              // 000000007AA4: D3B04004 1C209D04
	v_pk_fma_f32 v[6:7], v[6:7], s[78:79], v[8:9]              // 000000007AAC: D3B04006 1C209D06
	v_pk_mul_f32 v[4:5], v[4:5], v[96:97]                      // 000000007AB4: D3B14004 1802C104
	v_pk_mul_f32 v[6:7], v[6:7], v[98:99]                      // 000000007ABC: D3B14006 1802C506
	v_pk_mul_f32 v[4:5], v[4:5], s[60:61]                      // 000000007AC4: D3B14004 18007904
	v_pk_mul_f32 v[6:7], v[6:7], s[60:61]                      // 000000007ACC: D3B14006 18007906
	v_exp_f32_e32 v4, v4                                       // 000000007AD4: 7E084104
	v_exp_f32_e32 v5, v5                                       // 000000007AD8: 7E0A4105
	v_exp_f32_e32 v6, v6                                       // 000000007ADC: 7E0C4106
	v_exp_f32_e32 v7, v7                                       // 000000007AE0: 7E0E4107
	v_add_f32_e64 v4, v4, 1.0                                  // 000000007AE4: D1010004 0001E504
	v_add_f32_e64 v5, v5, 1.0                                  // 000000007AEC: D1010005 0001E505
	v_add_f32_e64 v6, v6, 1.0                                  // 000000007AF4: D1010006 0001E506
	v_add_f32_e64 v7, v7, 1.0                                  // 000000007AFC: D1010007 0001E507
	v_rcp_f32_e32 v4, v4                                       // 000000007B04: 7E084504
	v_rcp_f32_e32 v5, v5                                       // 000000007B08: 7E0A4505
	v_rcp_f32_e32 v6, v6                                       // 000000007B0C: 7E0C4506
	v_rcp_f32_e32 v7, v7                                       // 000000007B10: 7E0E4507
	v_mul_f32_e32 v96, v96, v4                                 // 000000007B14: 0AC00960
	v_mul_f32_e32 v97, v97, v5                                 // 000000007B18: 0AC20B61
	v_mul_f32_e32 v98, v98, v6                                 // 000000007B1C: 0AC40D62
	v_mul_f32_e32 v99, v99, v7                                 // 000000007B20: 0AC60F63
	v_mul_f32_e32 v96, v96, v124                               // 000000007B24: 0AC0F960
	v_mul_f32_e32 v97, v97, v125                               // 000000007B28: 0AC2FB61
	v_mul_f32_e32 v98, v98, v126                               // 000000007B2C: 0AC4FD62
	v_mul_f32_e32 v99, v99, v127                               // 000000007B30: 0AC6FF63
	s_branch label_1531                                        // 000000007B34: BF8200E0

0000000000007b38 <label_1451>:
	v_mul_f32_e64 v4, -v72, s6                                 // 000000007B38: D1050004 20000D48
	v_mul_f32_e64 v5, -v73, s6                                 // 000000007B40: D1050005 20000D49
	v_mul_f32_e64 v6, -v74, s6                                 // 000000007B48: D1050006 20000D4A
	v_mul_f32_e64 v7, -v75, s6                                 // 000000007B50: D1050007 20000D4B
	v_exp_f32_e32 v4, v4                                       // 000000007B58: 7E084104
	v_exp_f32_e32 v5, v5                                       // 000000007B5C: 7E0A4105
	v_exp_f32_e32 v6, v6                                       // 000000007B60: 7E0C4106
	v_exp_f32_e32 v7, v7                                       // 000000007B64: 7E0E4107
	v_add_f32_e64 v4, v4, 1.0                                  // 000000007B68: D1010004 0001E504
	v_add_f32_e64 v5, v5, 1.0                                  // 000000007B70: D1010005 0001E505
	v_add_f32_e64 v6, v6, 1.0                                  // 000000007B78: D1010006 0001E506
	v_add_f32_e64 v7, v7, 1.0                                  // 000000007B80: D1010007 0001E507
	v_rcp_f32_e32 v4, v4                                       // 000000007B88: 7E084504
	v_rcp_f32_e32 v5, v5                                       // 000000007B8C: 7E0A4505
	v_rcp_f32_e32 v6, v6                                       // 000000007B90: 7E0C4506
	v_rcp_f32_e32 v7, v7                                       // 000000007B94: 7E0E4507
	v_mul_f32_e32 v72, v72, v4                                 // 000000007B98: 0A900948
	v_mul_f32_e32 v73, v73, v5                                 // 000000007B9C: 0A920B49
	v_mul_f32_e32 v74, v74, v6                                 // 000000007BA0: 0A940D4A
	v_mul_f32_e32 v75, v75, v7                                 // 000000007BA4: 0A960F4B
	v_mul_f32_e32 v72, v72, v100                               // 000000007BA8: 0A90C948
	v_mul_f32_e32 v73, v73, v101                               // 000000007BAC: 0A92CB49
	v_mul_f32_e32 v74, v74, v102                               // 000000007BB0: 0A94CD4A
	v_mul_f32_e32 v75, v75, v103                               // 000000007BB4: 0A96CF4B
	v_mul_f32_e64 v4, -v76, s6                                 // 000000007BB8: D1050004 20000D4C
	v_mul_f32_e64 v5, -v77, s6                                 // 000000007BC0: D1050005 20000D4D
	v_mul_f32_e64 v6, -v78, s6                                 // 000000007BC8: D1050006 20000D4E
	v_mul_f32_e64 v7, -v79, s6                                 // 000000007BD0: D1050007 20000D4F
	v_exp_f32_e32 v4, v4                                       // 000000007BD8: 7E084104
	v_exp_f32_e32 v5, v5                                       // 000000007BDC: 7E0A4105
	v_exp_f32_e32 v6, v6                                       // 000000007BE0: 7E0C4106
	v_exp_f32_e32 v7, v7                                       // 000000007BE4: 7E0E4107
	v_add_f32_e64 v4, v4, 1.0                                  // 000000007BE8: D1010004 0001E504
	v_add_f32_e64 v5, v5, 1.0                                  // 000000007BF0: D1010005 0001E505
	v_add_f32_e64 v6, v6, 1.0                                  // 000000007BF8: D1010006 0001E506
	v_add_f32_e64 v7, v7, 1.0                                  // 000000007C00: D1010007 0001E507
	v_rcp_f32_e32 v4, v4                                       // 000000007C08: 7E084504
	v_rcp_f32_e32 v5, v5                                       // 000000007C0C: 7E0A4505
	v_rcp_f32_e32 v6, v6                                       // 000000007C10: 7E0C4506
	v_rcp_f32_e32 v7, v7                                       // 000000007C14: 7E0E4507
	v_mul_f32_e32 v76, v76, v4                                 // 000000007C18: 0A98094C
	v_mul_f32_e32 v77, v77, v5                                 // 000000007C1C: 0A9A0B4D
	v_mul_f32_e32 v78, v78, v6                                 // 000000007C20: 0A9C0D4E
	v_mul_f32_e32 v79, v79, v7                                 // 000000007C24: 0A9E0F4F
	v_mul_f32_e32 v76, v76, v104                               // 000000007C28: 0A98D14C
	v_mul_f32_e32 v77, v77, v105                               // 000000007C2C: 0A9AD34D
	v_mul_f32_e32 v78, v78, v106                               // 000000007C30: 0A9CD54E
	v_mul_f32_e32 v79, v79, v107                               // 000000007C34: 0A9ED74F
	v_mul_f32_e64 v4, -v80, s6                                 // 000000007C38: D1050004 20000D50
	v_mul_f32_e64 v5, -v81, s6                                 // 000000007C40: D1050005 20000D51
	v_mul_f32_e64 v6, -v82, s6                                 // 000000007C48: D1050006 20000D52
	v_mul_f32_e64 v7, -v83, s6                                 // 000000007C50: D1050007 20000D53
	v_exp_f32_e32 v4, v4                                       // 000000007C58: 7E084104
	v_exp_f32_e32 v5, v5                                       // 000000007C5C: 7E0A4105
	v_exp_f32_e32 v6, v6                                       // 000000007C60: 7E0C4106
	v_exp_f32_e32 v7, v7                                       // 000000007C64: 7E0E4107
	v_add_f32_e64 v4, v4, 1.0                                  // 000000007C68: D1010004 0001E504
	v_add_f32_e64 v5, v5, 1.0                                  // 000000007C70: D1010005 0001E505
	v_add_f32_e64 v6, v6, 1.0                                  // 000000007C78: D1010006 0001E506
	v_add_f32_e64 v7, v7, 1.0                                  // 000000007C80: D1010007 0001E507
	v_rcp_f32_e32 v4, v4                                       // 000000007C88: 7E084504
	v_rcp_f32_e32 v5, v5                                       // 000000007C8C: 7E0A4505
	v_rcp_f32_e32 v6, v6                                       // 000000007C90: 7E0C4506
	v_rcp_f32_e32 v7, v7                                       // 000000007C94: 7E0E4507
	v_mul_f32_e32 v80, v80, v4                                 // 000000007C98: 0AA00950
	v_mul_f32_e32 v81, v81, v5                                 // 000000007C9C: 0AA20B51
	v_mul_f32_e32 v82, v82, v6                                 // 000000007CA0: 0AA40D52
	v_mul_f32_e32 v83, v83, v7                                 // 000000007CA4: 0AA60F53
	v_mul_f32_e32 v80, v80, v108                               // 000000007CA8: 0AA0D950
	v_mul_f32_e32 v81, v81, v109                               // 000000007CAC: 0AA2DB51
	v_mul_f32_e32 v82, v82, v110                               // 000000007CB0: 0AA4DD52
	v_mul_f32_e32 v83, v83, v111                               // 000000007CB4: 0AA6DF53
	v_mul_f32_e64 v4, -v84, s6                                 // 000000007CB8: D1050004 20000D54
	v_mul_f32_e64 v5, -v85, s6                                 // 000000007CC0: D1050005 20000D55
	v_mul_f32_e64 v6, -v86, s6                                 // 000000007CC8: D1050006 20000D56
	v_mul_f32_e64 v7, -v87, s6                                 // 000000007CD0: D1050007 20000D57
	v_exp_f32_e32 v4, v4                                       // 000000007CD8: 7E084104
	v_exp_f32_e32 v5, v5                                       // 000000007CDC: 7E0A4105
	v_exp_f32_e32 v6, v6                                       // 000000007CE0: 7E0C4106
	v_exp_f32_e32 v7, v7                                       // 000000007CE4: 7E0E4107
	v_add_f32_e64 v4, v4, 1.0                                  // 000000007CE8: D1010004 0001E504
	v_add_f32_e64 v5, v5, 1.0                                  // 000000007CF0: D1010005 0001E505
	v_add_f32_e64 v6, v6, 1.0                                  // 000000007CF8: D1010006 0001E506
	v_add_f32_e64 v7, v7, 1.0                                  // 000000007D00: D1010007 0001E507
	v_rcp_f32_e32 v4, v4                                       // 000000007D08: 7E084504
	v_rcp_f32_e32 v5, v5                                       // 000000007D0C: 7E0A4505
	v_rcp_f32_e32 v6, v6                                       // 000000007D10: 7E0C4506
	v_rcp_f32_e32 v7, v7                                       // 000000007D14: 7E0E4507
	v_mul_f32_e32 v84, v84, v4                                 // 000000007D18: 0AA80954
	v_mul_f32_e32 v85, v85, v5                                 // 000000007D1C: 0AAA0B55
	v_mul_f32_e32 v86, v86, v6                                 // 000000007D20: 0AAC0D56
	v_mul_f32_e32 v87, v87, v7                                 // 000000007D24: 0AAE0F57
	v_mul_f32_e32 v84, v84, v112                               // 000000007D28: 0AA8E154
	v_mul_f32_e32 v85, v85, v113                               // 000000007D2C: 0AAAE355
	v_mul_f32_e32 v86, v86, v114                               // 000000007D30: 0AACE556
	v_mul_f32_e32 v87, v87, v115                               // 000000007D34: 0AAEE757
	v_mul_f32_e64 v4, -v88, s6                                 // 000000007D38: D1050004 20000D58
	v_mul_f32_e64 v5, -v89, s6                                 // 000000007D40: D1050005 20000D59
	v_mul_f32_e64 v6, -v90, s6                                 // 000000007D48: D1050006 20000D5A
	v_mul_f32_e64 v7, -v91, s6                                 // 000000007D50: D1050007 20000D5B
	v_exp_f32_e32 v4, v4                                       // 000000007D58: 7E084104
	v_exp_f32_e32 v5, v5                                       // 000000007D5C: 7E0A4105
	v_exp_f32_e32 v6, v6                                       // 000000007D60: 7E0C4106
	v_exp_f32_e32 v7, v7                                       // 000000007D64: 7E0E4107
	v_add_f32_e64 v4, v4, 1.0                                  // 000000007D68: D1010004 0001E504
	v_add_f32_e64 v5, v5, 1.0                                  // 000000007D70: D1010005 0001E505
	v_add_f32_e64 v6, v6, 1.0                                  // 000000007D78: D1010006 0001E506
	v_add_f32_e64 v7, v7, 1.0                                  // 000000007D80: D1010007 0001E507
	v_rcp_f32_e32 v4, v4                                       // 000000007D88: 7E084504
	v_rcp_f32_e32 v5, v5                                       // 000000007D8C: 7E0A4505
	v_rcp_f32_e32 v6, v6                                       // 000000007D90: 7E0C4506
	v_rcp_f32_e32 v7, v7                                       // 000000007D94: 7E0E4507
	v_mul_f32_e32 v88, v88, v4                                 // 000000007D98: 0AB00958
	v_mul_f32_e32 v89, v89, v5                                 // 000000007D9C: 0AB20B59
	v_mul_f32_e32 v90, v90, v6                                 // 000000007DA0: 0AB40D5A
	v_mul_f32_e32 v91, v91, v7                                 // 000000007DA4: 0AB60F5B
	v_mul_f32_e32 v88, v88, v116                               // 000000007DA8: 0AB0E958
	v_mul_f32_e32 v89, v89, v117                               // 000000007DAC: 0AB2EB59
	v_mul_f32_e32 v90, v90, v118                               // 000000007DB0: 0AB4ED5A
	v_mul_f32_e32 v91, v91, v119                               // 000000007DB4: 0AB6EF5B
	v_mul_f32_e64 v4, -v92, s6                                 // 000000007DB8: D1050004 20000D5C
	v_mul_f32_e64 v5, -v93, s6                                 // 000000007DC0: D1050005 20000D5D
	v_mul_f32_e64 v6, -v94, s6                                 // 000000007DC8: D1050006 20000D5E
	v_mul_f32_e64 v7, -v95, s6                                 // 000000007DD0: D1050007 20000D5F
	v_exp_f32_e32 v4, v4                                       // 000000007DD8: 7E084104
	v_exp_f32_e32 v5, v5                                       // 000000007DDC: 7E0A4105
	v_exp_f32_e32 v6, v6                                       // 000000007DE0: 7E0C4106
	v_exp_f32_e32 v7, v7                                       // 000000007DE4: 7E0E4107
	v_add_f32_e64 v4, v4, 1.0                                  // 000000007DE8: D1010004 0001E504
	v_add_f32_e64 v5, v5, 1.0                                  // 000000007DF0: D1010005 0001E505
	v_add_f32_e64 v6, v6, 1.0                                  // 000000007DF8: D1010006 0001E506
	v_add_f32_e64 v7, v7, 1.0                                  // 000000007E00: D1010007 0001E507
	v_rcp_f32_e32 v4, v4                                       // 000000007E08: 7E084504
	v_rcp_f32_e32 v5, v5                                       // 000000007E0C: 7E0A4505
	v_rcp_f32_e32 v6, v6                                       // 000000007E10: 7E0C4506
	v_rcp_f32_e32 v7, v7                                       // 000000007E14: 7E0E4507
	v_mul_f32_e32 v92, v92, v4                                 // 000000007E18: 0AB8095C
	v_mul_f32_e32 v93, v93, v5                                 // 000000007E1C: 0ABA0B5D
	v_mul_f32_e32 v94, v94, v6                                 // 000000007E20: 0ABC0D5E
	v_mul_f32_e32 v95, v95, v7                                 // 000000007E24: 0ABE0F5F
	v_mul_f32_e32 v92, v92, v120                               // 000000007E28: 0AB8F15C
	v_mul_f32_e32 v93, v93, v121                               // 000000007E2C: 0ABAF35D
	v_mul_f32_e32 v94, v94, v122                               // 000000007E30: 0ABCF55E
	v_mul_f32_e32 v95, v95, v123                               // 000000007E34: 0ABEF75F
	v_mul_f32_e64 v4, -v96, s6                                 // 000000007E38: D1050004 20000D60
	v_mul_f32_e64 v5, -v97, s6                                 // 000000007E40: D1050005 20000D61
	v_mul_f32_e64 v6, -v98, s6                                 // 000000007E48: D1050006 20000D62
	v_mul_f32_e64 v7, -v99, s6                                 // 000000007E50: D1050007 20000D63
	v_exp_f32_e32 v4, v4                                       // 000000007E58: 7E084104
	v_exp_f32_e32 v5, v5                                       // 000000007E5C: 7E0A4105
	v_exp_f32_e32 v6, v6                                       // 000000007E60: 7E0C4106
	v_exp_f32_e32 v7, v7                                       // 000000007E64: 7E0E4107
	v_add_f32_e64 v4, v4, 1.0                                  // 000000007E68: D1010004 0001E504
	v_add_f32_e64 v5, v5, 1.0                                  // 000000007E70: D1010005 0001E505
	v_add_f32_e64 v6, v6, 1.0                                  // 000000007E78: D1010006 0001E506
	v_add_f32_e64 v7, v7, 1.0                                  // 000000007E80: D1010007 0001E507
	v_rcp_f32_e32 v4, v4                                       // 000000007E88: 7E084504
	v_rcp_f32_e32 v5, v5                                       // 000000007E8C: 7E0A4505
	v_rcp_f32_e32 v6, v6                                       // 000000007E90: 7E0C4506
	v_rcp_f32_e32 v7, v7                                       // 000000007E94: 7E0E4507
	v_mul_f32_e32 v96, v96, v4                                 // 000000007E98: 0AC00960
	v_mul_f32_e32 v97, v97, v5                                 // 000000007E9C: 0AC20B61
	v_mul_f32_e32 v98, v98, v6                                 // 000000007EA0: 0AC40D62
	v_mul_f32_e32 v99, v99, v7                                 // 000000007EA4: 0AC60F63
	v_mul_f32_e32 v96, v96, v124                               // 000000007EA8: 0AC0F960
	v_mul_f32_e32 v97, v97, v125                               // 000000007EAC: 0AC2FB61
	v_mul_f32_e32 v98, v98, v126                               // 000000007EB0: 0AC4FD62
	v_mul_f32_e32 v99, v99, v127                               // 000000007EB4: 0AC6FF63

0000000000007eb8 <label_1531>:
	v_cmp_u_f32_e64 s[46:47], v72, v72                         // 000000007EB8: D048002E 00029148
	v_add3_u32 v16, v72, v19, 1                                // 000000007EC0: D1FF0010 02062748
	v_cndmask_b32_e64 v4, v16, v18, s[46:47]                   // 000000007EC8: D1000004 00BA2510
	v_cmp_u_f32_e64 s[46:47], v73, v73                         // 000000007ED0: D048002E 00029349
	v_add3_u32 v16, v73, v19, 1                                // 000000007ED8: D1FF0010 02062749
	v_cndmask_b32_e64 v5, v16, v18, s[46:47]                   // 000000007EE0: D1000005 00BA2510
	v_perm_b32 v72, v5, v4, s52                                // 000000007EE8: D1ED0048 00D20905
	v_cmp_u_f32_e64 s[46:47], v74, v74                         // 000000007EF0: D048002E 0002954A
	v_add3_u32 v16, v74, v19, 1                                // 000000007EF8: D1FF0010 0206274A
	v_cndmask_b32_e64 v4, v16, v18, s[46:47]                   // 000000007F00: D1000004 00BA2510
	v_cmp_u_f32_e64 s[46:47], v75, v75                         // 000000007F08: D048002E 0002974B
	v_add3_u32 v16, v75, v19, 1                                // 000000007F10: D1FF0010 0206274B
	v_cndmask_b32_e64 v5, v16, v18, s[46:47]                   // 000000007F18: D1000005 00BA2510
	v_perm_b32 v73, v5, v4, s52                                // 000000007F20: D1ED0049 00D20905
	v_cmp_u_f32_e64 s[46:47], v76, v76                         // 000000007F28: D048002E 0002994C
	v_add3_u32 v16, v76, v19, 1                                // 000000007F30: D1FF0010 0206274C
	v_cndmask_b32_e64 v4, v16, v18, s[46:47]                   // 000000007F38: D1000004 00BA2510
	v_cmp_u_f32_e64 s[46:47], v77, v77                         // 000000007F40: D048002E 00029B4D
	v_add3_u32 v16, v77, v19, 1                                // 000000007F48: D1FF0010 0206274D
	v_cndmask_b32_e64 v5, v16, v18, s[46:47]                   // 000000007F50: D1000005 00BA2510
	v_perm_b32 v74, v5, v4, s52                                // 000000007F58: D1ED004A 00D20905
	v_cmp_u_f32_e64 s[46:47], v78, v78                         // 000000007F60: D048002E 00029D4E
	v_add3_u32 v16, v78, v19, 1                                // 000000007F68: D1FF0010 0206274E
	v_cndmask_b32_e64 v4, v16, v18, s[46:47]                   // 000000007F70: D1000004 00BA2510
	v_cmp_u_f32_e64 s[46:47], v79, v79                         // 000000007F78: D048002E 00029F4F
	v_add3_u32 v16, v79, v19, 1                                // 000000007F80: D1FF0010 0206274F
	v_cndmask_b32_e64 v5, v16, v18, s[46:47]                   // 000000007F88: D1000005 00BA2510
	v_perm_b32 v75, v5, v4, s52                                // 000000007F90: D1ED004B 00D20905
	v_cmp_u_f32_e64 s[46:47], v80, v80                         // 000000007F98: D048002E 0002A150
	v_add3_u32 v16, v80, v19, 1                                // 000000007FA0: D1FF0010 02062750
	v_cndmask_b32_e64 v4, v16, v18, s[46:47]                   // 000000007FA8: D1000004 00BA2510
	v_cmp_u_f32_e64 s[46:47], v81, v81                         // 000000007FB0: D048002E 0002A351
	v_add3_u32 v16, v81, v19, 1                                // 000000007FB8: D1FF0010 02062751
	v_cndmask_b32_e64 v5, v16, v18, s[46:47]                   // 000000007FC0: D1000005 00BA2510
	v_perm_b32 v76, v5, v4, s52                                // 000000007FC8: D1ED004C 00D20905
	v_cmp_u_f32_e64 s[46:47], v82, v82                         // 000000007FD0: D048002E 0002A552
	v_add3_u32 v16, v82, v19, 1                                // 000000007FD8: D1FF0010 02062752
	v_cndmask_b32_e64 v4, v16, v18, s[46:47]                   // 000000007FE0: D1000004 00BA2510
	v_cmp_u_f32_e64 s[46:47], v83, v83                         // 000000007FE8: D048002E 0002A753
	v_add3_u32 v16, v83, v19, 1                                // 000000007FF0: D1FF0010 02062753
	v_cndmask_b32_e64 v5, v16, v18, s[46:47]                   // 000000007FF8: D1000005 00BA2510
	v_perm_b32 v77, v5, v4, s52                                // 000000008000: D1ED004D 00D20905
	v_cmp_u_f32_e64 s[46:47], v84, v84                         // 000000008008: D048002E 0002A954
	v_add3_u32 v16, v84, v19, 1                                // 000000008010: D1FF0010 02062754
	v_cndmask_b32_e64 v4, v16, v18, s[46:47]                   // 000000008018: D1000004 00BA2510
	v_cmp_u_f32_e64 s[46:47], v85, v85                         // 000000008020: D048002E 0002AB55
	v_add3_u32 v16, v85, v19, 1                                // 000000008028: D1FF0010 02062755
	v_cndmask_b32_e64 v5, v16, v18, s[46:47]                   // 000000008030: D1000005 00BA2510
	v_perm_b32 v78, v5, v4, s52                                // 000000008038: D1ED004E 00D20905
	v_cmp_u_f32_e64 s[46:47], v86, v86                         // 000000008040: D048002E 0002AD56
	v_add3_u32 v16, v86, v19, 1                                // 000000008048: D1FF0010 02062756
	v_cndmask_b32_e64 v4, v16, v18, s[46:47]                   // 000000008050: D1000004 00BA2510
	v_cmp_u_f32_e64 s[46:47], v87, v87                         // 000000008058: D048002E 0002AF57
	v_add3_u32 v16, v87, v19, 1                                // 000000008060: D1FF0010 02062757
	v_cndmask_b32_e64 v5, v16, v18, s[46:47]                   // 000000008068: D1000005 00BA2510
	v_perm_b32 v79, v5, v4, s52                                // 000000008070: D1ED004F 00D20905
	v_cmp_u_f32_e64 s[46:47], v88, v88                         // 000000008078: D048002E 0002B158
	v_add3_u32 v16, v88, v19, 1                                // 000000008080: D1FF0010 02062758
	v_cndmask_b32_e64 v4, v16, v18, s[46:47]                   // 000000008088: D1000004 00BA2510
	v_cmp_u_f32_e64 s[46:47], v89, v89                         // 000000008090: D048002E 0002B359
	v_add3_u32 v16, v89, v19, 1                                // 000000008098: D1FF0010 02062759
	v_cndmask_b32_e64 v5, v16, v18, s[46:47]                   // 0000000080A0: D1000005 00BA2510
	v_perm_b32 v80, v5, v4, s52                                // 0000000080A8: D1ED0050 00D20905
	v_cmp_u_f32_e64 s[46:47], v90, v90                         // 0000000080B0: D048002E 0002B55A
	v_add3_u32 v16, v90, v19, 1                                // 0000000080B8: D1FF0010 0206275A
	v_cndmask_b32_e64 v4, v16, v18, s[46:47]                   // 0000000080C0: D1000004 00BA2510
	v_cmp_u_f32_e64 s[46:47], v91, v91                         // 0000000080C8: D048002E 0002B75B
	v_add3_u32 v16, v91, v19, 1                                // 0000000080D0: D1FF0010 0206275B
	v_cndmask_b32_e64 v5, v16, v18, s[46:47]                   // 0000000080D8: D1000005 00BA2510
	v_perm_b32 v81, v5, v4, s52                                // 0000000080E0: D1ED0051 00D20905
	v_cmp_u_f32_e64 s[46:47], v92, v92                         // 0000000080E8: D048002E 0002B95C
	v_add3_u32 v16, v92, v19, 1                                // 0000000080F0: D1FF0010 0206275C
	v_cndmask_b32_e64 v4, v16, v18, s[46:47]                   // 0000000080F8: D1000004 00BA2510
	v_cmp_u_f32_e64 s[46:47], v93, v93                         // 000000008100: D048002E 0002BB5D
	v_add3_u32 v16, v93, v19, 1                                // 000000008108: D1FF0010 0206275D
	v_cndmask_b32_e64 v5, v16, v18, s[46:47]                   // 000000008110: D1000005 00BA2510
	v_perm_b32 v82, v5, v4, s52                                // 000000008118: D1ED0052 00D20905
	v_cmp_u_f32_e64 s[46:47], v94, v94                         // 000000008120: D048002E 0002BD5E
	v_add3_u32 v16, v94, v19, 1                                // 000000008128: D1FF0010 0206275E
	v_cndmask_b32_e64 v4, v16, v18, s[46:47]                   // 000000008130: D1000004 00BA2510
	v_cmp_u_f32_e64 s[46:47], v95, v95                         // 000000008138: D048002E 0002BF5F
	v_add3_u32 v16, v95, v19, 1                                // 000000008140: D1FF0010 0206275F
	v_cndmask_b32_e64 v5, v16, v18, s[46:47]                   // 000000008148: D1000005 00BA2510
	v_perm_b32 v83, v5, v4, s52                                // 000000008150: D1ED0053 00D20905
	v_cmp_u_f32_e64 s[46:47], v96, v96                         // 000000008158: D048002E 0002C160
	v_add3_u32 v16, v96, v19, 1                                // 000000008160: D1FF0010 02062760
	v_cndmask_b32_e64 v4, v16, v18, s[46:47]                   // 000000008168: D1000004 00BA2510
	v_cmp_u_f32_e64 s[46:47], v97, v97                         // 000000008170: D048002E 0002C361
	v_add3_u32 v16, v97, v19, 1                                // 000000008178: D1FF0010 02062761
	v_cndmask_b32_e64 v5, v16, v18, s[46:47]                   // 000000008180: D1000005 00BA2510
	v_perm_b32 v84, v5, v4, s52                                // 000000008188: D1ED0054 00D20905
	v_cmp_u_f32_e64 s[46:47], v98, v98                         // 000000008190: D048002E 0002C562
	v_add3_u32 v16, v98, v19, 1                                // 000000008198: D1FF0010 02062762
	v_cndmask_b32_e64 v4, v16, v18, s[46:47]                   // 0000000081A0: D1000004 00BA2510
	v_cmp_u_f32_e64 s[46:47], v99, v99                         // 0000000081A8: D048002E 0002C763
	v_add3_u32 v16, v99, v19, 1                                // 0000000081B0: D1FF0010 02062763
	v_cndmask_b32_e64 v5, v16, v18, s[46:47]                   // 0000000081B8: D1000005 00BA2510
	v_perm_b32 v85, v5, v4, s52                                // 0000000081C0: D1ED0055 00D20905
	ds_write_b64 v20, v[72:73]                                 // 0000000081C8: D89A0000 00004814
	ds_write_b64 v20, v[74:75] offset:2176                     // 0000000081D0: D89A0880 00004A14
	ds_write_b64 v20, v[76:77] offset:4352                     // 0000000081D8: D89A1100 00004C14
	ds_write_b64 v20, v[78:79] offset:6528                     // 0000000081E0: D89A1980 00004E14
	ds_write_b64 v20, v[80:81] offset:8704                     // 0000000081E8: D89A2200 00005014
	ds_write_b64 v20, v[82:83] offset:10880                    // 0000000081F0: D89A2A80 00005214
	ds_write_b64 v20, v[84:85] offset:13056                    // 0000000081F8: D89A3300 00005414
	v_lshrrev_b32_e32 v4, 5, v0                                // 000000008200: 20080085
	v_xor_b32_e32 v5, 1, v4                                    // 000000008204: 2A0A0881
	s_mul_i32 s60, s65, 2                                      // 000000008208: 923C8241
	s_cmp_eq_u32 s88, 0                                        // 00000000820C: BF068058
	s_cselect_b32 s61, 1, 4                                    // 000000008210: 853D8481
	s_mul_i32 s60, s61, s60                                    // 000000008214: 923C3C3D
	v_readlane_b32 s82, v3, 0                                  // 000000008218: D2890052 00010103
	s_lshr_b32 s61, s82, 24                                    // 000000008220: 8F3D9852
	s_and_b32 s82, s82, 0xffffff                               // 000000008224: 8652FF52 00FFFFFF
	s_mul_i32 s82, s82, s71                                    // 00000000822C: 92524752
	s_mul_i32 s61, s60, s61                                    // 000000008230: 923D3D3C
	s_add_u32 s82, s82, s61                                    // 000000008234: 80523D52
	v_mul_lo_u32 v6, v5, s82                                   // 000000008238: D2850006 0000A505
	v_readlane_b32 s82, v3, 1                                  // 000000008240: D2890052 00010303
	s_lshr_b32 s61, s82, 24                                    // 000000008248: 8F3D9852
	s_and_b32 s82, s82, 0xffffff                               // 00000000824C: 8652FF52 00FFFFFF
	s_mul_i32 s82, s82, s71                                    // 000000008254: 92524752
	s_mul_i32 s61, s60, s61                                    // 000000008258: 923D3D3C
	s_add_u32 s82, s82, s61                                    // 00000000825C: 80523D52
	v_mul_lo_u32 v7, v4, s82                                   // 000000008260: D2850007 0000A504
	v_add_u32_e32 v56, v6, v7                                  // 000000008268: 68700F06
	v_readlane_b32 s82, v3, 2                                  // 00000000826C: D2890052 00010503
	s_lshr_b32 s61, s82, 24                                    // 000000008274: 8F3D9852
	s_and_b32 s82, s82, 0xffffff                               // 000000008278: 8652FF52 00FFFFFF
	s_mul_i32 s82, s82, s71                                    // 000000008280: 92524752
	s_mul_i32 s61, s60, s61                                    // 000000008284: 923D3D3C
	s_add_u32 s82, s82, s61                                    // 000000008288: 80523D52
	v_mul_lo_u32 v6, v5, s82                                   // 00000000828C: D2850006 0000A505
	v_readlane_b32 s82, v3, 3                                  // 000000008294: D2890052 00010703
	s_lshr_b32 s61, s82, 24                                    // 00000000829C: 8F3D9852
	s_and_b32 s82, s82, 0xffffff                               // 0000000082A0: 8652FF52 00FFFFFF
	s_mul_i32 s82, s82, s71                                    // 0000000082A8: 92524752
	s_mul_i32 s61, s60, s61                                    // 0000000082AC: 923D3D3C
	s_add_u32 s82, s82, s61                                    // 0000000082B0: 80523D52
	v_mul_lo_u32 v7, v4, s82                                   // 0000000082B4: D2850007 0000A504
	v_add_u32_e32 v57, v6, v7                                  // 0000000082BC: 68720F06
	v_readlane_b32 s82, v3, 4                                  // 0000000082C0: D2890052 00010903
	s_lshr_b32 s61, s82, 24                                    // 0000000082C8: 8F3D9852
	s_and_b32 s82, s82, 0xffffff                               // 0000000082CC: 8652FF52 00FFFFFF
	s_mul_i32 s82, s82, s71                                    // 0000000082D4: 92524752
	s_mul_i32 s61, s60, s61                                    // 0000000082D8: 923D3D3C
	s_add_u32 s82, s82, s61                                    // 0000000082DC: 80523D52
	v_mul_lo_u32 v6, v5, s82                                   // 0000000082E0: D2850006 0000A505
	v_readlane_b32 s82, v3, 5                                  // 0000000082E8: D2890052 00010B03
	s_lshr_b32 s61, s82, 24                                    // 0000000082F0: 8F3D9852
	s_and_b32 s82, s82, 0xffffff                               // 0000000082F4: 8652FF52 00FFFFFF
	s_mul_i32 s82, s82, s71                                    // 0000000082FC: 92524752
	s_mul_i32 s61, s60, s61                                    // 000000008300: 923D3D3C
	s_add_u32 s82, s82, s61                                    // 000000008304: 80523D52
	v_mul_lo_u32 v7, v4, s82                                   // 000000008308: D2850007 0000A504
	v_add_u32_e32 v58, v6, v7                                  // 000000008310: 68740F06
	v_readlane_b32 s82, v3, 6                                  // 000000008314: D2890052 00010D03
	s_lshr_b32 s61, s82, 24                                    // 00000000831C: 8F3D9852
	s_and_b32 s82, s82, 0xffffff                               // 000000008320: 8652FF52 00FFFFFF
	s_mul_i32 s82, s82, s71                                    // 000000008328: 92524752
	s_mul_i32 s61, s60, s61                                    // 00000000832C: 923D3D3C
	s_add_u32 s82, s82, s61                                    // 000000008330: 80523D52
	v_mul_lo_u32 v6, v5, s82                                   // 000000008334: D2850006 0000A505
	v_readlane_b32 s82, v3, 7                                  // 00000000833C: D2890052 00010F03
	s_lshr_b32 s61, s82, 24                                    // 000000008344: 8F3D9852
	s_and_b32 s82, s82, 0xffffff                               // 000000008348: 8652FF52 00FFFFFF
	s_mul_i32 s82, s82, s71                                    // 000000008350: 92524752
	s_mul_i32 s61, s60, s61                                    // 000000008354: 923D3D3C
	s_add_u32 s82, s82, s61                                    // 000000008358: 80523D52
	v_mul_lo_u32 v7, v4, s82                                   // 00000000835C: D2850007 0000A504
	v_add_u32_e32 v59, v6, v7                                  // 000000008364: 68760F06
	v_readlane_b32 s82, v3, 8                                  // 000000008368: D2890052 00011103
	s_lshr_b32 s61, s82, 24                                    // 000000008370: 8F3D9852
	s_and_b32 s82, s82, 0xffffff                               // 000000008374: 8652FF52 00FFFFFF
	s_mul_i32 s82, s82, s71                                    // 00000000837C: 92524752
	s_mul_i32 s61, s60, s61                                    // 000000008380: 923D3D3C
	s_add_u32 s82, s82, s61                                    // 000000008384: 80523D52
	v_mul_lo_u32 v6, v5, s82                                   // 000000008388: D2850006 0000A505
	v_readlane_b32 s82, v3, 9                                  // 000000008390: D2890052 00011303
	s_lshr_b32 s61, s82, 24                                    // 000000008398: 8F3D9852
	s_and_b32 s82, s82, 0xffffff                               // 00000000839C: 8652FF52 00FFFFFF
	s_mul_i32 s82, s82, s71                                    // 0000000083A4: 92524752
	s_mul_i32 s61, s60, s61                                    // 0000000083A8: 923D3D3C
	s_add_u32 s82, s82, s61                                    // 0000000083AC: 80523D52
	v_mul_lo_u32 v7, v4, s82                                   // 0000000083B0: D2850007 0000A504
	v_add_u32_e32 v60, v6, v7                                  // 0000000083B8: 68780F06
	v_readlane_b32 s82, v3, 10                                 // 0000000083BC: D2890052 00011503
	s_lshr_b32 s61, s82, 24                                    // 0000000083C4: 8F3D9852
	s_and_b32 s82, s82, 0xffffff                               // 0000000083C8: 8652FF52 00FFFFFF
	s_mul_i32 s82, s82, s71                                    // 0000000083D0: 92524752
	s_mul_i32 s61, s60, s61                                    // 0000000083D4: 923D3D3C
	s_add_u32 s82, s82, s61                                    // 0000000083D8: 80523D52
	v_mul_lo_u32 v6, v5, s82                                   // 0000000083DC: D2850006 0000A505
	v_readlane_b32 s82, v3, 11                                 // 0000000083E4: D2890052 00011703
	s_lshr_b32 s61, s82, 24                                    // 0000000083EC: 8F3D9852
	s_and_b32 s82, s82, 0xffffff                               // 0000000083F0: 8652FF52 00FFFFFF
	s_mul_i32 s82, s82, s71                                    // 0000000083F8: 92524752
	s_mul_i32 s61, s60, s61                                    // 0000000083FC: 923D3D3C
	s_add_u32 s82, s82, s61                                    // 000000008400: 80523D52
	v_mul_lo_u32 v7, v4, s82                                   // 000000008404: D2850007 0000A504
	v_add_u32_e32 v61, v6, v7                                  // 00000000840C: 687A0F06
	v_readlane_b32 s82, v3, 12                                 // 000000008410: D2890052 00011903
	s_lshr_b32 s61, s82, 24                                    // 000000008418: 8F3D9852
	s_and_b32 s82, s82, 0xffffff                               // 00000000841C: 8652FF52 00FFFFFF
	s_mul_i32 s82, s82, s71                                    // 000000008424: 92524752
	s_mul_i32 s61, s60, s61                                    // 000000008428: 923D3D3C
	s_add_u32 s82, s82, s61                                    // 00000000842C: 80523D52
	v_mul_lo_u32 v6, v5, s82                                   // 000000008430: D2850006 0000A505
	v_readlane_b32 s82, v3, 13                                 // 000000008438: D2890052 00011B03
	s_lshr_b32 s61, s82, 24                                    // 000000008440: 8F3D9852
	s_and_b32 s82, s82, 0xffffff                               // 000000008444: 8652FF52 00FFFFFF
	s_mul_i32 s82, s82, s71                                    // 00000000844C: 92524752
	s_mul_i32 s61, s60, s61                                    // 000000008450: 923D3D3C
	s_add_u32 s82, s82, s61                                    // 000000008454: 80523D52
	v_mul_lo_u32 v7, v4, s82                                   // 000000008458: D2850007 0000A504
	v_add_u32_e32 v62, v6, v7                                  // 000000008460: 687C0F06
	v_readlane_b32 s82, v3, 14                                 // 000000008464: D2890052 00011D03
	s_lshr_b32 s61, s82, 24                                    // 00000000846C: 8F3D9852
	s_and_b32 s82, s82, 0xffffff                               // 000000008470: 8652FF52 00FFFFFF
	s_mul_i32 s82, s82, s71                                    // 000000008478: 92524752
	s_mul_i32 s61, s60, s61                                    // 00000000847C: 923D3D3C
	s_add_u32 s82, s82, s61                                    // 000000008480: 80523D52
	v_mul_lo_u32 v6, v5, s82                                   // 000000008484: D2850006 0000A505
	v_readlane_b32 s82, v3, 15                                 // 00000000848C: D2890052 00011F03
	s_lshr_b32 s61, s82, 24                                    // 000000008494: 8F3D9852
	s_and_b32 s82, s82, 0xffffff                               // 000000008498: 8652FF52 00FFFFFF
	s_mul_i32 s82, s82, s71                                    // 0000000084A0: 92524752
	s_mul_i32 s61, s60, s61                                    // 0000000084A4: 923D3D3C
	s_add_u32 s82, s82, s61                                    // 0000000084A8: 80523D52
	v_mul_lo_u32 v7, v4, s82                                   // 0000000084AC: D2850007 0000A504
	v_add_u32_e32 v63, v6, v7                                  // 0000000084B4: 687E0F06
	v_readlane_b32 s82, v3, 16                                 // 0000000084B8: D2890052 00012103
	s_lshr_b32 s61, s82, 24                                    // 0000000084C0: 8F3D9852
	s_and_b32 s82, s82, 0xffffff                               // 0000000084C4: 8652FF52 00FFFFFF
	s_mul_i32 s82, s82, s71                                    // 0000000084CC: 92524752
	s_mul_i32 s61, s60, s61                                    // 0000000084D0: 923D3D3C
	s_add_u32 s82, s82, s61                                    // 0000000084D4: 80523D52
	v_mul_lo_u32 v6, v5, s82                                   // 0000000084D8: D2850006 0000A505
	v_readlane_b32 s82, v3, 17                                 // 0000000084E0: D2890052 00012303
	s_lshr_b32 s61, s82, 24                                    // 0000000084E8: 8F3D9852
	s_and_b32 s82, s82, 0xffffff                               // 0000000084EC: 8652FF52 00FFFFFF
	s_mul_i32 s82, s82, s71                                    // 0000000084F4: 92524752
	s_mul_i32 s61, s60, s61                                    // 0000000084F8: 923D3D3C
	s_add_u32 s82, s82, s61                                    // 0000000084FC: 80523D52
	v_mul_lo_u32 v7, v4, s82                                   // 000000008500: D2850007 0000A504
	v_add_u32_e32 v64, v6, v7                                  // 000000008508: 68800F06
	v_readlane_b32 s82, v3, 18                                 // 00000000850C: D2890052 00012503
	s_lshr_b32 s61, s82, 24                                    // 000000008514: 8F3D9852
	s_and_b32 s82, s82, 0xffffff                               // 000000008518: 8652FF52 00FFFFFF
	s_mul_i32 s82, s82, s71                                    // 000000008520: 92524752
	s_mul_i32 s61, s60, s61                                    // 000000008524: 923D3D3C
	s_add_u32 s82, s82, s61                                    // 000000008528: 80523D52
	v_mul_lo_u32 v6, v5, s82                                   // 00000000852C: D2850006 0000A505
	v_readlane_b32 s82, v3, 19                                 // 000000008534: D2890052 00012703
	s_lshr_b32 s61, s82, 24                                    // 00000000853C: 8F3D9852
	s_and_b32 s82, s82, 0xffffff                               // 000000008540: 8652FF52 00FFFFFF
	s_mul_i32 s82, s82, s71                                    // 000000008548: 92524752
	s_mul_i32 s61, s60, s61                                    // 00000000854C: 923D3D3C
	s_add_u32 s82, s82, s61                                    // 000000008550: 80523D52
	v_mul_lo_u32 v7, v4, s82                                   // 000000008554: D2850007 0000A504
	v_add_u32_e32 v65, v6, v7                                  // 00000000855C: 68820F06
	v_readlane_b32 s82, v3, 20                                 // 000000008560: D2890052 00012903
	s_lshr_b32 s61, s82, 24                                    // 000000008568: 8F3D9852
	s_and_b32 s82, s82, 0xffffff                               // 00000000856C: 8652FF52 00FFFFFF
	s_mul_i32 s82, s82, s71                                    // 000000008574: 92524752
	s_mul_i32 s61, s60, s61                                    // 000000008578: 923D3D3C
	s_add_u32 s82, s82, s61                                    // 00000000857C: 80523D52
	v_mul_lo_u32 v6, v5, s82                                   // 000000008580: D2850006 0000A505
	v_readlane_b32 s82, v3, 21                                 // 000000008588: D2890052 00012B03
	s_lshr_b32 s61, s82, 24                                    // 000000008590: 8F3D9852
	s_and_b32 s82, s82, 0xffffff                               // 000000008594: 8652FF52 00FFFFFF
	s_mul_i32 s82, s82, s71                                    // 00000000859C: 92524752
	s_mul_i32 s61, s60, s61                                    // 0000000085A0: 923D3D3C
	s_add_u32 s82, s82, s61                                    // 0000000085A4: 80523D52
	v_mul_lo_u32 v7, v4, s82                                   // 0000000085A8: D2850007 0000A504
	v_add_u32_e32 v66, v6, v7                                  // 0000000085B0: 68840F06
	v_readlane_b32 s82, v3, 22                                 // 0000000085B4: D2890052 00012D03
	s_lshr_b32 s61, s82, 24                                    // 0000000085BC: 8F3D9852
	s_and_b32 s82, s82, 0xffffff                               // 0000000085C0: 8652FF52 00FFFFFF
	s_mul_i32 s82, s82, s71                                    // 0000000085C8: 92524752
	s_mul_i32 s61, s60, s61                                    // 0000000085CC: 923D3D3C
	s_add_u32 s82, s82, s61                                    // 0000000085D0: 80523D52
	v_mul_lo_u32 v6, v5, s82                                   // 0000000085D4: D2850006 0000A505
	v_readlane_b32 s82, v3, 23                                 // 0000000085DC: D2890052 00012F03
	s_lshr_b32 s61, s82, 24                                    // 0000000085E4: 8F3D9852
	s_and_b32 s82, s82, 0xffffff                               // 0000000085E8: 8652FF52 00FFFFFF
	s_mul_i32 s82, s82, s71                                    // 0000000085F0: 92524752
	s_mul_i32 s61, s60, s61                                    // 0000000085F4: 923D3D3C
	s_add_u32 s82, s82, s61                                    // 0000000085F8: 80523D52
	v_mul_lo_u32 v7, v4, s82                                   // 0000000085FC: D2850007 0000A504
	v_add_u32_e32 v67, v6, v7                                  // 000000008604: 68860F06
	v_readlane_b32 s82, v3, 24                                 // 000000008608: D2890052 00013103
	s_lshr_b32 s61, s82, 24                                    // 000000008610: 8F3D9852
	s_and_b32 s82, s82, 0xffffff                               // 000000008614: 8652FF52 00FFFFFF
	s_mul_i32 s82, s82, s71                                    // 00000000861C: 92524752
	s_mul_i32 s61, s60, s61                                    // 000000008620: 923D3D3C
	s_add_u32 s82, s82, s61                                    // 000000008624: 80523D52
	v_mul_lo_u32 v6, v5, s82                                   // 000000008628: D2850006 0000A505
	v_readlane_b32 s82, v3, 25                                 // 000000008630: D2890052 00013303
	s_lshr_b32 s61, s82, 24                                    // 000000008638: 8F3D9852
	s_and_b32 s82, s82, 0xffffff                               // 00000000863C: 8652FF52 00FFFFFF
	s_mul_i32 s82, s82, s71                                    // 000000008644: 92524752
	s_mul_i32 s61, s60, s61                                    // 000000008648: 923D3D3C
	s_add_u32 s82, s82, s61                                    // 00000000864C: 80523D52
	v_mul_lo_u32 v7, v4, s82                                   // 000000008650: D2850007 0000A504
	v_add_u32_e32 v68, v6, v7                                  // 000000008658: 68880F06
	v_readlane_b32 s82, v3, 26                                 // 00000000865C: D2890052 00013503
	s_lshr_b32 s61, s82, 24                                    // 000000008664: 8F3D9852
	s_and_b32 s82, s82, 0xffffff                               // 000000008668: 8652FF52 00FFFFFF
	s_mul_i32 s82, s82, s71                                    // 000000008670: 92524752
	s_mul_i32 s61, s60, s61                                    // 000000008674: 923D3D3C
	s_add_u32 s82, s82, s61                                    // 000000008678: 80523D52
	v_mul_lo_u32 v6, v5, s82                                   // 00000000867C: D2850006 0000A505
	v_readlane_b32 s82, v3, 27                                 // 000000008684: D2890052 00013703
	s_lshr_b32 s61, s82, 24                                    // 00000000868C: 8F3D9852
	s_and_b32 s82, s82, 0xffffff                               // 000000008690: 8652FF52 00FFFFFF
	s_mul_i32 s82, s82, s71                                    // 000000008698: 92524752
	s_mul_i32 s61, s60, s61                                    // 00000000869C: 923D3D3C
	s_add_u32 s82, s82, s61                                    // 0000000086A0: 80523D52
	v_mul_lo_u32 v7, v4, s82                                   // 0000000086A4: D2850007 0000A504
	v_add_u32_e32 v69, v6, v7                                  // 0000000086AC: 688A0F06
	v_and_b32_e32 v4, 31, v0                                   // 0000000086B0: 2608009F
	v_lshrrev_b32_e32 v4, 1, v4                                // 0000000086B4: 20080881
	s_cmp_eq_u32 s88, 0                                        // 0000000086B8: BF068058
	s_cselect_b32 s61, 2, 4                                    // 0000000086BC: 853D8482
	v_mul_lo_u32 v4, v4, s61                                   // 0000000086C0: D2850004 00007B04
	v_and_b32_e64 v5, v0, 1                                    // 0000000086C8: D1130005 00010300
	v_add_u32_e32 v4, v4, v5                                   // 0000000086D0: 68080B04
	v_lshlrev_b32_e32 v4, 2, v4                                // 0000000086D4: 24080882
	v_add_u32_e32 v56, v56, v4                                 // 0000000086D8: 68700938
	v_add_u32_e32 v57, v57, v4                                 // 0000000086DC: 68720939
	v_add_u32_e32 v58, v58, v4                                 // 0000000086E0: 6874093A
	v_add_u32_e32 v59, v59, v4                                 // 0000000086E4: 6876093B
	v_add_u32_e32 v60, v60, v4                                 // 0000000086E8: 6878093C
	v_add_u32_e32 v61, v61, v4                                 // 0000000086EC: 687A093D
	v_add_u32_e32 v62, v62, v4                                 // 0000000086F0: 687C093E
	v_add_u32_e32 v63, v63, v4                                 // 0000000086F4: 687E093F
	v_add_u32_e32 v64, v64, v4                                 // 0000000086F8: 68800940
	v_add_u32_e32 v65, v65, v4                                 // 0000000086FC: 68820941
	v_add_u32_e32 v66, v66, v4                                 // 000000008700: 68840942
	v_add_u32_e32 v67, v67, v4                                 // 000000008704: 68860943
	;; [unrolled: 1-line block ×3, first 2 shown]
	v_add_u32_e32 v69, v69, v4                                 // 00000000870C: 688A0945
	s_waitcnt lgkmcnt(0)                                       // 000000008710: BF8CC07F
	s_barrier                                                  // 000000008714: BF8A0000
	ds_read_b32 v72, v21                                       // 000000008718: D86C0000 48000015
	ds_read_b32 v73, v21 offset:64                             // 000000008720: D86C0040 49000015
	ds_read_b32 v74, v21 offset:2176                           // 000000008728: D86C0880 4A000015
	ds_read_b32 v75, v21 offset:2240                           // 000000008730: D86C08C0 4B000015
	ds_read_b32 v76, v21 offset:4352                           // 000000008738: D86C1100 4C000015
	ds_read_b32 v77, v21 offset:4416                           // 000000008740: D86C1140 4D000015
	ds_read_b32 v78, v21 offset:6528                           // 000000008748: D86C1980 4E000015
	ds_read_b32 v79, v21 offset:6592                           // 000000008750: D86C19C0 4F000015
	ds_read_b32 v80, v21 offset:8704                           // 000000008758: D86C2200 50000015
	ds_read_b32 v81, v21 offset:8768                           // 000000008760: D86C2240 51000015
	ds_read_b32 v82, v21 offset:10880                          // 000000008768: D86C2A80 52000015
	ds_read_b32 v83, v21 offset:10944                          // 000000008770: D86C2AC0 53000015
	ds_read_b32 v84, v21 offset:13056                          // 000000008778: D86C3300 54000015
	ds_read_b32 v85, v21 offset:13120                          // 000000008780: D86C3340 55000015
	s_waitcnt lgkmcnt(0)                                       // 000000008788: BF8CC07F
	s_mov_b32 s36, -1                                          // 00000000878C: BEA400C1
	s_mov_b32 s37, -1                                          // 000000008790: BEA500C1
	v_mov_b32_e32 v7, 0                                        // 000000008794: 7E0E0280
	s_or_b32 s9, s9, 0x40000                                   // 000000008798: 8709FF09 00040000
	s_mov_b64 exec, s[36:37]                                   // 0000000087A0: BEFE0124
	v_mov_b32_e32 v6, v56                                      // 0000000087A4: 7E0C0338
	s_mov_b64 s[60:61], 0                                      // 0000000087A8: BEBC0180
	v_readlane_b32 s82, v3, 0                                  // 0000000087AC: D2890052 00010103
	s_and_b32 s82, s82, 0xffffff                               // 0000000087B4: 8652FF52 00FFFFFF
	s_cmp_lt_u32 s82, s66                                      // 0000000087BC: BF0A4252
	s_cselect_b32 s20, s36, s60                                // 0000000087C0: 85143C24
	v_readlane_b32 s82, v3, 1                                  // 0000000087C4: D2890052 00010303
	s_and_b32 s82, s82, 0xffffff                               // 0000000087CC: 8652FF52 00FFFFFF
	s_cmp_lt_u32 s82, s66                                      // 0000000087D4: BF0A4252
	s_cselect_b32 s21, s36, s60                                // 0000000087D8: 85153C24
	s_mov_b64 exec, s[20:21]                                   // 0000000087DC: BEFE0114
	buffer_store_dword v72, v6, s[8:11], 0 offen               // 0000000087E0: E0701000 80024806
	s_mov_b64 exec, s[36:37]                                   // 0000000087E8: BEFE0124
	v_mov_b32_e32 v6, v57                                      // 0000000087EC: 7E0C0339
	s_mov_b64 s[60:61], 0                                      // 0000000087F0: BEBC0180
	v_readlane_b32 s82, v3, 2                                  // 0000000087F4: D2890052 00010503
	s_and_b32 s82, s82, 0xffffff                               // 0000000087FC: 8652FF52 00FFFFFF
	s_cmp_lt_u32 s82, s66                                      // 000000008804: BF0A4252
	s_cselect_b32 s20, s36, s60                                // 000000008808: 85143C24
	v_readlane_b32 s82, v3, 3                                  // 00000000880C: D2890052 00010703
	s_and_b32 s82, s82, 0xffffff                               // 000000008814: 8652FF52 00FFFFFF
	s_cmp_lt_u32 s82, s66                                      // 00000000881C: BF0A4252
	s_cselect_b32 s21, s36, s60                                // 000000008820: 85153C24
	s_mov_b64 exec, s[20:21]                                   // 000000008824: BEFE0114
	buffer_store_dword v73, v6, s[8:11], 0 offen               // 000000008828: E0701000 80024906
	s_mov_b64 exec, s[36:37]                                   // 000000008830: BEFE0124
	v_mov_b32_e32 v6, v58                                      // 000000008834: 7E0C033A
	s_mov_b64 s[60:61], 0                                      // 000000008838: BEBC0180
	v_readlane_b32 s82, v3, 4                                  // 00000000883C: D2890052 00010903
	s_and_b32 s82, s82, 0xffffff                               // 000000008844: 8652FF52 00FFFFFF
	s_cmp_lt_u32 s82, s66                                      // 00000000884C: BF0A4252
	s_cselect_b32 s20, s36, s60                                // 000000008850: 85143C24
	v_readlane_b32 s82, v3, 5                                  // 000000008854: D2890052 00010B03
	s_and_b32 s82, s82, 0xffffff                               // 00000000885C: 8652FF52 00FFFFFF
	s_cmp_lt_u32 s82, s66                                      // 000000008864: BF0A4252
	s_cselect_b32 s21, s36, s60                                // 000000008868: 85153C24
	s_mov_b64 exec, s[20:21]                                   // 00000000886C: BEFE0114
	buffer_store_dword v74, v6, s[8:11], 0 offen               // 000000008870: E0701000 80024A06
	s_mov_b64 exec, s[36:37]                                   // 000000008878: BEFE0124
	v_mov_b32_e32 v6, v59                                      // 00000000887C: 7E0C033B
	s_mov_b64 s[60:61], 0                                      // 000000008880: BEBC0180
	v_readlane_b32 s82, v3, 6                                  // 000000008884: D2890052 00010D03
	s_and_b32 s82, s82, 0xffffff                               // 00000000888C: 8652FF52 00FFFFFF
	s_cmp_lt_u32 s82, s66                                      // 000000008894: BF0A4252
	s_cselect_b32 s20, s36, s60                                // 000000008898: 85143C24
	v_readlane_b32 s82, v3, 7                                  // 00000000889C: D2890052 00010F03
	s_and_b32 s82, s82, 0xffffff                               // 0000000088A4: 8652FF52 00FFFFFF
	s_cmp_lt_u32 s82, s66                                      // 0000000088AC: BF0A4252
	s_cselect_b32 s21, s36, s60                                // 0000000088B0: 85153C24
	s_mov_b64 exec, s[20:21]                                   // 0000000088B4: BEFE0114
	buffer_store_dword v75, v6, s[8:11], 0 offen               // 0000000088B8: E0701000 80024B06
	s_mov_b64 exec, s[36:37]                                   // 0000000088C0: BEFE0124
	v_mov_b32_e32 v6, v60                                      // 0000000088C4: 7E0C033C
	s_mov_b64 s[60:61], 0                                      // 0000000088C8: BEBC0180
	v_readlane_b32 s82, v3, 8                                  // 0000000088CC: D2890052 00011103
	s_and_b32 s82, s82, 0xffffff                               // 0000000088D4: 8652FF52 00FFFFFF
	s_cmp_lt_u32 s82, s66                                      // 0000000088DC: BF0A4252
	s_cselect_b32 s20, s36, s60                                // 0000000088E0: 85143C24
	v_readlane_b32 s82, v3, 9                                  // 0000000088E4: D2890052 00011303
	s_and_b32 s82, s82, 0xffffff                               // 0000000088EC: 8652FF52 00FFFFFF
	s_cmp_lt_u32 s82, s66                                      // 0000000088F4: BF0A4252
	s_cselect_b32 s21, s36, s60                                // 0000000088F8: 85153C24
	s_mov_b64 exec, s[20:21]                                   // 0000000088FC: BEFE0114
	buffer_store_dword v76, v6, s[8:11], 0 offen               // 000000008900: E0701000 80024C06
	s_mov_b64 exec, s[36:37]                                   // 000000008908: BEFE0124
	v_mov_b32_e32 v6, v61                                      // 00000000890C: 7E0C033D
	s_mov_b64 s[60:61], 0                                      // 000000008910: BEBC0180
	v_readlane_b32 s82, v3, 10                                 // 000000008914: D2890052 00011503
	s_and_b32 s82, s82, 0xffffff                               // 00000000891C: 8652FF52 00FFFFFF
	s_cmp_lt_u32 s82, s66                                      // 000000008924: BF0A4252
	s_cselect_b32 s20, s36, s60                                // 000000008928: 85143C24
	v_readlane_b32 s82, v3, 11                                 // 00000000892C: D2890052 00011703
	s_and_b32 s82, s82, 0xffffff                               // 000000008934: 8652FF52 00FFFFFF
	s_cmp_lt_u32 s82, s66                                      // 00000000893C: BF0A4252
	s_cselect_b32 s21, s36, s60                                // 000000008940: 85153C24
	s_mov_b64 exec, s[20:21]                                   // 000000008944: BEFE0114
	buffer_store_dword v77, v6, s[8:11], 0 offen               // 000000008948: E0701000 80024D06
	s_mov_b64 exec, s[36:37]                                   // 000000008950: BEFE0124
	v_mov_b32_e32 v6, v62                                      // 000000008954: 7E0C033E
	s_mov_b64 s[60:61], 0                                      // 000000008958: BEBC0180
	v_readlane_b32 s82, v3, 12                                 // 00000000895C: D2890052 00011903
	s_and_b32 s82, s82, 0xffffff                               // 000000008964: 8652FF52 00FFFFFF
	s_cmp_lt_u32 s82, s66                                      // 00000000896C: BF0A4252
	s_cselect_b32 s20, s36, s60                                // 000000008970: 85143C24
	v_readlane_b32 s82, v3, 13                                 // 000000008974: D2890052 00011B03
	s_and_b32 s82, s82, 0xffffff                               // 00000000897C: 8652FF52 00FFFFFF
	s_cmp_lt_u32 s82, s66                                      // 000000008984: BF0A4252
	s_cselect_b32 s21, s36, s60                                // 000000008988: 85153C24
	s_mov_b64 exec, s[20:21]                                   // 00000000898C: BEFE0114
	buffer_store_dword v78, v6, s[8:11], 0 offen               // 000000008990: E0701000 80024E06
	s_mov_b64 exec, s[36:37]                                   // 000000008998: BEFE0124
	v_mov_b32_e32 v6, v63                                      // 00000000899C: 7E0C033F
	s_mov_b64 s[60:61], 0                                      // 0000000089A0: BEBC0180
	v_readlane_b32 s82, v3, 14                                 // 0000000089A4: D2890052 00011D03
	s_and_b32 s82, s82, 0xffffff                               // 0000000089AC: 8652FF52 00FFFFFF
	s_cmp_lt_u32 s82, s66                                      // 0000000089B4: BF0A4252
	s_cselect_b32 s20, s36, s60                                // 0000000089B8: 85143C24
	v_readlane_b32 s82, v3, 15                                 // 0000000089BC: D2890052 00011F03
	s_and_b32 s82, s82, 0xffffff                               // 0000000089C4: 8652FF52 00FFFFFF
	s_cmp_lt_u32 s82, s66                                      // 0000000089CC: BF0A4252
	s_cselect_b32 s21, s36, s60                                // 0000000089D0: 85153C24
	s_mov_b64 exec, s[20:21]                                   // 0000000089D4: BEFE0114
	buffer_store_dword v79, v6, s[8:11], 0 offen               // 0000000089D8: E0701000 80024F06
	s_mov_b64 exec, s[36:37]                                   // 0000000089E0: BEFE0124
	v_mov_b32_e32 v6, v64                                      // 0000000089E4: 7E0C0340
	s_mov_b64 s[60:61], 0                                      // 0000000089E8: BEBC0180
	v_readlane_b32 s82, v3, 16                                 // 0000000089EC: D2890052 00012103
	s_and_b32 s82, s82, 0xffffff                               // 0000000089F4: 8652FF52 00FFFFFF
	s_cmp_lt_u32 s82, s66                                      // 0000000089FC: BF0A4252
	s_cselect_b32 s20, s36, s60                                // 000000008A00: 85143C24
	v_readlane_b32 s82, v3, 17                                 // 000000008A04: D2890052 00012303
	s_and_b32 s82, s82, 0xffffff                               // 000000008A0C: 8652FF52 00FFFFFF
	s_cmp_lt_u32 s82, s66                                      // 000000008A14: BF0A4252
	s_cselect_b32 s21, s36, s60                                // 000000008A18: 85153C24
	s_mov_b64 exec, s[20:21]                                   // 000000008A1C: BEFE0114
	buffer_store_dword v80, v6, s[8:11], 0 offen               // 000000008A20: E0701000 80025006
	s_mov_b64 exec, s[36:37]                                   // 000000008A28: BEFE0124
	v_mov_b32_e32 v6, v65                                      // 000000008A2C: 7E0C0341
	s_mov_b64 s[60:61], 0                                      // 000000008A30: BEBC0180
	v_readlane_b32 s82, v3, 18                                 // 000000008A34: D2890052 00012503
	s_and_b32 s82, s82, 0xffffff                               // 000000008A3C: 8652FF52 00FFFFFF
	s_cmp_lt_u32 s82, s66                                      // 000000008A44: BF0A4252
	s_cselect_b32 s20, s36, s60                                // 000000008A48: 85143C24
	v_readlane_b32 s82, v3, 19                                 // 000000008A4C: D2890052 00012703
	s_and_b32 s82, s82, 0xffffff                               // 000000008A54: 8652FF52 00FFFFFF
	s_cmp_lt_u32 s82, s66                                      // 000000008A5C: BF0A4252
	s_cselect_b32 s21, s36, s60                                // 000000008A60: 85153C24
	s_mov_b64 exec, s[20:21]                                   // 000000008A64: BEFE0114
	buffer_store_dword v81, v6, s[8:11], 0 offen               // 000000008A68: E0701000 80025106
	s_mov_b64 exec, s[36:37]                                   // 000000008A70: BEFE0124
	v_mov_b32_e32 v6, v66                                      // 000000008A74: 7E0C0342
	s_mov_b64 s[60:61], 0                                      // 000000008A78: BEBC0180
	v_readlane_b32 s82, v3, 20                                 // 000000008A7C: D2890052 00012903
	s_and_b32 s82, s82, 0xffffff                               // 000000008A84: 8652FF52 00FFFFFF
	s_cmp_lt_u32 s82, s66                                      // 000000008A8C: BF0A4252
	s_cselect_b32 s20, s36, s60                                // 000000008A90: 85143C24
	v_readlane_b32 s82, v3, 21                                 // 000000008A94: D2890052 00012B03
	s_and_b32 s82, s82, 0xffffff                               // 000000008A9C: 8652FF52 00FFFFFF
	s_cmp_lt_u32 s82, s66                                      // 000000008AA4: BF0A4252
	s_cselect_b32 s21, s36, s60                                // 000000008AA8: 85153C24
	s_mov_b64 exec, s[20:21]                                   // 000000008AAC: BEFE0114
	buffer_store_dword v82, v6, s[8:11], 0 offen               // 000000008AB0: E0701000 80025206
	s_mov_b64 exec, s[36:37]                                   // 000000008AB8: BEFE0124
	v_mov_b32_e32 v6, v67                                      // 000000008ABC: 7E0C0343
	s_mov_b64 s[60:61], 0                                      // 000000008AC0: BEBC0180
	v_readlane_b32 s82, v3, 22                                 // 000000008AC4: D2890052 00012D03
	s_and_b32 s82, s82, 0xffffff                               // 000000008ACC: 8652FF52 00FFFFFF
	s_cmp_lt_u32 s82, s66                                      // 000000008AD4: BF0A4252
	s_cselect_b32 s20, s36, s60                                // 000000008AD8: 85143C24
	v_readlane_b32 s82, v3, 23                                 // 000000008ADC: D2890052 00012F03
	s_and_b32 s82, s82, 0xffffff                               // 000000008AE4: 8652FF52 00FFFFFF
	s_cmp_lt_u32 s82, s66                                      // 000000008AEC: BF0A4252
	s_cselect_b32 s21, s36, s60                                // 000000008AF0: 85153C24
	s_mov_b64 exec, s[20:21]                                   // 000000008AF4: BEFE0114
	buffer_store_dword v83, v6, s[8:11], 0 offen               // 000000008AF8: E0701000 80025306
	s_mov_b64 exec, s[36:37]                                   // 000000008B00: BEFE0124
	v_mov_b32_e32 v6, v68                                      // 000000008B04: 7E0C0344
	s_mov_b64 s[60:61], 0                                      // 000000008B08: BEBC0180
	v_readlane_b32 s82, v3, 24                                 // 000000008B0C: D2890052 00013103
	s_and_b32 s82, s82, 0xffffff                               // 000000008B14: 8652FF52 00FFFFFF
	s_cmp_lt_u32 s82, s66                                      // 000000008B1C: BF0A4252
	s_cselect_b32 s20, s36, s60                                // 000000008B20: 85143C24
	v_readlane_b32 s82, v3, 25                                 // 000000008B24: D2890052 00013303
	s_and_b32 s82, s82, 0xffffff                               // 000000008B2C: 8652FF52 00FFFFFF
	s_cmp_lt_u32 s82, s66                                      // 000000008B34: BF0A4252
	s_cselect_b32 s21, s36, s60                                // 000000008B38: 85153C24
	s_mov_b64 exec, s[20:21]                                   // 000000008B3C: BEFE0114
	buffer_store_dword v84, v6, s[8:11], 0 offen               // 000000008B40: E0701000 80025406
	s_mov_b64 exec, s[36:37]                                   // 000000008B48: BEFE0124
	v_mov_b32_e32 v6, v69                                      // 000000008B4C: 7E0C0345
	s_mov_b64 s[60:61], 0                                      // 000000008B50: BEBC0180
	v_readlane_b32 s82, v3, 26                                 // 000000008B54: D2890052 00013503
	s_and_b32 s82, s82, 0xffffff                               // 000000008B5C: 8652FF52 00FFFFFF
	s_cmp_lt_u32 s82, s66                                      // 000000008B64: BF0A4252
	s_cselect_b32 s20, s36, s60                                // 000000008B68: 85143C24
	v_readlane_b32 s82, v3, 27                                 // 000000008B6C: D2890052 00013703
	s_and_b32 s82, s82, 0xffffff                               // 000000008B74: 8652FF52 00FFFFFF
	s_cmp_lt_u32 s82, s66                                      // 000000008B7C: BF0A4252
	s_cselect_b32 s21, s36, s60                                // 000000008B80: 85153C24
	s_mov_b64 exec, s[20:21]                                   // 000000008B84: BEFE0114
	buffer_store_dword v85, v6, s[8:11], 0 offen               // 000000008B88: E0701000 80025506
	s_mov_b64 exec, s[36:37]                                   // 000000008B90: BEFE0124
	s_branch label_1E5F                                        // 000000008B94: BF8205F6

0000000000008b98 <label_1869>:
	ds_write_b64 v20, v[72:73]                                 // 000000008B98: D89A0000 00004814
	ds_write_b64 v20, v[76:77] offset:2176                     // 000000008BA0: D89A0880 00004C14
	ds_write_b64 v20, v[80:81] offset:4352                     // 000000008BA8: D89A1100 00005014
	ds_write_b64 v20, v[84:85] offset:6528                     // 000000008BB0: D89A1980 00005414
	ds_write_b64 v20, v[88:89] offset:8704                     // 000000008BB8: D89A2200 00005814
	ds_write_b64 v20, v[92:93] offset:10880                    // 000000008BC0: D89A2A80 00005C14
	ds_write_b64 v20, v[96:97] offset:13056                    // 000000008BC8: D89A3300 00006014
	v_lshrrev_b32_e32 v4, 5, v0                                // 000000008BD0: 20080085
	v_xor_b32_e32 v5, 1, v4                                    // 000000008BD4: 2A0A0881
	s_mul_i32 s60, s65, 2                                      // 000000008BD8: 923C8241
	s_cmp_eq_u32 s88, 0                                        // 000000008BDC: BF068058
	s_cselect_b32 s61, 1, 4                                    // 000000008BE0: 853D8481
	s_mul_i32 s60, s61, s60                                    // 000000008BE4: 923C3C3D
	v_readlane_b32 s82, v3, 0                                  // 000000008BE8: D2890052 00010103
	s_lshr_b32 s61, s82, 24                                    // 000000008BF0: 8F3D9852
	s_and_b32 s82, s82, 0xffffff                               // 000000008BF4: 8652FF52 00FFFFFF
	s_mul_i32 s82, s82, s71                                    // 000000008BFC: 92524752
	s_mul_i32 s61, s60, s61                                    // 000000008C00: 923D3D3C
	s_add_u32 s82, s82, s61                                    // 000000008C04: 80523D52
	v_mul_lo_u32 v6, v5, s82                                   // 000000008C08: D2850006 0000A505
	v_readlane_b32 s82, v3, 1                                  // 000000008C10: D2890052 00010303
	s_lshr_b32 s61, s82, 24                                    // 000000008C18: 8F3D9852
	s_and_b32 s82, s82, 0xffffff                               // 000000008C1C: 8652FF52 00FFFFFF
	s_mul_i32 s82, s82, s71                                    // 000000008C24: 92524752
	s_mul_i32 s61, s60, s61                                    // 000000008C28: 923D3D3C
	s_add_u32 s82, s82, s61                                    // 000000008C2C: 80523D52
	v_mul_lo_u32 v7, v4, s82                                   // 000000008C30: D2850007 0000A504
	v_add_u32_e32 v56, v6, v7                                  // 000000008C38: 68700F06
	v_readlane_b32 s82, v3, 2                                  // 000000008C3C: D2890052 00010503
	s_lshr_b32 s61, s82, 24                                    // 000000008C44: 8F3D9852
	s_and_b32 s82, s82, 0xffffff                               // 000000008C48: 8652FF52 00FFFFFF
	s_mul_i32 s82, s82, s71                                    // 000000008C50: 92524752
	s_mul_i32 s61, s60, s61                                    // 000000008C54: 923D3D3C
	s_add_u32 s82, s82, s61                                    // 000000008C58: 80523D52
	v_mul_lo_u32 v6, v5, s82                                   // 000000008C5C: D2850006 0000A505
	v_readlane_b32 s82, v3, 3                                  // 000000008C64: D2890052 00010703
	s_lshr_b32 s61, s82, 24                                    // 000000008C6C: 8F3D9852
	s_and_b32 s82, s82, 0xffffff                               // 000000008C70: 8652FF52 00FFFFFF
	s_mul_i32 s82, s82, s71                                    // 000000008C78: 92524752
	s_mul_i32 s61, s60, s61                                    // 000000008C7C: 923D3D3C
	s_add_u32 s82, s82, s61                                    // 000000008C80: 80523D52
	v_mul_lo_u32 v7, v4, s82                                   // 000000008C84: D2850007 0000A504
	v_add_u32_e32 v57, v6, v7                                  // 000000008C8C: 68720F06
	v_readlane_b32 s82, v3, 4                                  // 000000008C90: D2890052 00010903
	s_lshr_b32 s61, s82, 24                                    // 000000008C98: 8F3D9852
	s_and_b32 s82, s82, 0xffffff                               // 000000008C9C: 8652FF52 00FFFFFF
	s_mul_i32 s82, s82, s71                                    // 000000008CA4: 92524752
	s_mul_i32 s61, s60, s61                                    // 000000008CA8: 923D3D3C
	s_add_u32 s82, s82, s61                                    // 000000008CAC: 80523D52
	v_mul_lo_u32 v6, v5, s82                                   // 000000008CB0: D2850006 0000A505
	v_readlane_b32 s82, v3, 5                                  // 000000008CB8: D2890052 00010B03
	s_lshr_b32 s61, s82, 24                                    // 000000008CC0: 8F3D9852
	s_and_b32 s82, s82, 0xffffff                               // 000000008CC4: 8652FF52 00FFFFFF
	s_mul_i32 s82, s82, s71                                    // 000000008CCC: 92524752
	s_mul_i32 s61, s60, s61                                    // 000000008CD0: 923D3D3C
	s_add_u32 s82, s82, s61                                    // 000000008CD4: 80523D52
	v_mul_lo_u32 v7, v4, s82                                   // 000000008CD8: D2850007 0000A504
	v_add_u32_e32 v58, v6, v7                                  // 000000008CE0: 68740F06
	v_readlane_b32 s82, v3, 6                                  // 000000008CE4: D2890052 00010D03
	s_lshr_b32 s61, s82, 24                                    // 000000008CEC: 8F3D9852
	s_and_b32 s82, s82, 0xffffff                               // 000000008CF0: 8652FF52 00FFFFFF
	s_mul_i32 s82, s82, s71                                    // 000000008CF8: 92524752
	s_mul_i32 s61, s60, s61                                    // 000000008CFC: 923D3D3C
	s_add_u32 s82, s82, s61                                    // 000000008D00: 80523D52
	v_mul_lo_u32 v6, v5, s82                                   // 000000008D04: D2850006 0000A505
	v_readlane_b32 s82, v3, 7                                  // 000000008D0C: D2890052 00010F03
	s_lshr_b32 s61, s82, 24                                    // 000000008D14: 8F3D9852
	s_and_b32 s82, s82, 0xffffff                               // 000000008D18: 8652FF52 00FFFFFF
	s_mul_i32 s82, s82, s71                                    // 000000008D20: 92524752
	s_mul_i32 s61, s60, s61                                    // 000000008D24: 923D3D3C
	s_add_u32 s82, s82, s61                                    // 000000008D28: 80523D52
	v_mul_lo_u32 v7, v4, s82                                   // 000000008D2C: D2850007 0000A504
	v_add_u32_e32 v59, v6, v7                                  // 000000008D34: 68760F06
	v_readlane_b32 s82, v3, 8                                  // 000000008D38: D2890052 00011103
	s_lshr_b32 s61, s82, 24                                    // 000000008D40: 8F3D9852
	s_and_b32 s82, s82, 0xffffff                               // 000000008D44: 8652FF52 00FFFFFF
	s_mul_i32 s82, s82, s71                                    // 000000008D4C: 92524752
	s_mul_i32 s61, s60, s61                                    // 000000008D50: 923D3D3C
	s_add_u32 s82, s82, s61                                    // 000000008D54: 80523D52
	v_mul_lo_u32 v6, v5, s82                                   // 000000008D58: D2850006 0000A505
	v_readlane_b32 s82, v3, 9                                  // 000000008D60: D2890052 00011303
	s_lshr_b32 s61, s82, 24                                    // 000000008D68: 8F3D9852
	s_and_b32 s82, s82, 0xffffff                               // 000000008D6C: 8652FF52 00FFFFFF
	s_mul_i32 s82, s82, s71                                    // 000000008D74: 92524752
	s_mul_i32 s61, s60, s61                                    // 000000008D78: 923D3D3C
	s_add_u32 s82, s82, s61                                    // 000000008D7C: 80523D52
	v_mul_lo_u32 v7, v4, s82                                   // 000000008D80: D2850007 0000A504
	v_add_u32_e32 v60, v6, v7                                  // 000000008D88: 68780F06
	v_readlane_b32 s82, v3, 10                                 // 000000008D8C: D2890052 00011503
	s_lshr_b32 s61, s82, 24                                    // 000000008D94: 8F3D9852
	s_and_b32 s82, s82, 0xffffff                               // 000000008D98: 8652FF52 00FFFFFF
	s_mul_i32 s82, s82, s71                                    // 000000008DA0: 92524752
	s_mul_i32 s61, s60, s61                                    // 000000008DA4: 923D3D3C
	s_add_u32 s82, s82, s61                                    // 000000008DA8: 80523D52
	v_mul_lo_u32 v6, v5, s82                                   // 000000008DAC: D2850006 0000A505
	v_readlane_b32 s82, v3, 11                                 // 000000008DB4: D2890052 00011703
	s_lshr_b32 s61, s82, 24                                    // 000000008DBC: 8F3D9852
	s_and_b32 s82, s82, 0xffffff                               // 000000008DC0: 8652FF52 00FFFFFF
	s_mul_i32 s82, s82, s71                                    // 000000008DC8: 92524752
	s_mul_i32 s61, s60, s61                                    // 000000008DCC: 923D3D3C
	s_add_u32 s82, s82, s61                                    // 000000008DD0: 80523D52
	v_mul_lo_u32 v7, v4, s82                                   // 000000008DD4: D2850007 0000A504
	v_add_u32_e32 v61, v6, v7                                  // 000000008DDC: 687A0F06
	v_readlane_b32 s82, v3, 12                                 // 000000008DE0: D2890052 00011903
	s_lshr_b32 s61, s82, 24                                    // 000000008DE8: 8F3D9852
	s_and_b32 s82, s82, 0xffffff                               // 000000008DEC: 8652FF52 00FFFFFF
	s_mul_i32 s82, s82, s71                                    // 000000008DF4: 92524752
	s_mul_i32 s61, s60, s61                                    // 000000008DF8: 923D3D3C
	s_add_u32 s82, s82, s61                                    // 000000008DFC: 80523D52
	v_mul_lo_u32 v6, v5, s82                                   // 000000008E00: D2850006 0000A505
	v_readlane_b32 s82, v3, 13                                 // 000000008E08: D2890052 00011B03
	s_lshr_b32 s61, s82, 24                                    // 000000008E10: 8F3D9852
	s_and_b32 s82, s82, 0xffffff                               // 000000008E14: 8652FF52 00FFFFFF
	s_mul_i32 s82, s82, s71                                    // 000000008E1C: 92524752
	s_mul_i32 s61, s60, s61                                    // 000000008E20: 923D3D3C
	s_add_u32 s82, s82, s61                                    // 000000008E24: 80523D52
	v_mul_lo_u32 v7, v4, s82                                   // 000000008E28: D2850007 0000A504
	v_add_u32_e32 v62, v6, v7                                  // 000000008E30: 687C0F06
	v_readlane_b32 s82, v3, 14                                 // 000000008E34: D2890052 00011D03
	s_lshr_b32 s61, s82, 24                                    // 000000008E3C: 8F3D9852
	s_and_b32 s82, s82, 0xffffff                               // 000000008E40: 8652FF52 00FFFFFF
	s_mul_i32 s82, s82, s71                                    // 000000008E48: 92524752
	s_mul_i32 s61, s60, s61                                    // 000000008E4C: 923D3D3C
	s_add_u32 s82, s82, s61                                    // 000000008E50: 80523D52
	v_mul_lo_u32 v6, v5, s82                                   // 000000008E54: D2850006 0000A505
	v_readlane_b32 s82, v3, 15                                 // 000000008E5C: D2890052 00011F03
	s_lshr_b32 s61, s82, 24                                    // 000000008E64: 8F3D9852
	s_and_b32 s82, s82, 0xffffff                               // 000000008E68: 8652FF52 00FFFFFF
	s_mul_i32 s82, s82, s71                                    // 000000008E70: 92524752
	s_mul_i32 s61, s60, s61                                    // 000000008E74: 923D3D3C
	s_add_u32 s82, s82, s61                                    // 000000008E78: 80523D52
	v_mul_lo_u32 v7, v4, s82                                   // 000000008E7C: D2850007 0000A504
	v_add_u32_e32 v63, v6, v7                                  // 000000008E84: 687E0F06
	v_readlane_b32 s82, v3, 16                                 // 000000008E88: D2890052 00012103
	s_lshr_b32 s61, s82, 24                                    // 000000008E90: 8F3D9852
	s_and_b32 s82, s82, 0xffffff                               // 000000008E94: 8652FF52 00FFFFFF
	s_mul_i32 s82, s82, s71                                    // 000000008E9C: 92524752
	s_mul_i32 s61, s60, s61                                    // 000000008EA0: 923D3D3C
	s_add_u32 s82, s82, s61                                    // 000000008EA4: 80523D52
	v_mul_lo_u32 v6, v5, s82                                   // 000000008EA8: D2850006 0000A505
	v_readlane_b32 s82, v3, 17                                 // 000000008EB0: D2890052 00012303
	s_lshr_b32 s61, s82, 24                                    // 000000008EB8: 8F3D9852
	s_and_b32 s82, s82, 0xffffff                               // 000000008EBC: 8652FF52 00FFFFFF
	s_mul_i32 s82, s82, s71                                    // 000000008EC4: 92524752
	s_mul_i32 s61, s60, s61                                    // 000000008EC8: 923D3D3C
	s_add_u32 s82, s82, s61                                    // 000000008ECC: 80523D52
	v_mul_lo_u32 v7, v4, s82                                   // 000000008ED0: D2850007 0000A504
	v_add_u32_e32 v64, v6, v7                                  // 000000008ED8: 68800F06
	v_readlane_b32 s82, v3, 18                                 // 000000008EDC: D2890052 00012503
	s_lshr_b32 s61, s82, 24                                    // 000000008EE4: 8F3D9852
	s_and_b32 s82, s82, 0xffffff                               // 000000008EE8: 8652FF52 00FFFFFF
	s_mul_i32 s82, s82, s71                                    // 000000008EF0: 92524752
	s_mul_i32 s61, s60, s61                                    // 000000008EF4: 923D3D3C
	s_add_u32 s82, s82, s61                                    // 000000008EF8: 80523D52
	v_mul_lo_u32 v6, v5, s82                                   // 000000008EFC: D2850006 0000A505
	v_readlane_b32 s82, v3, 19                                 // 000000008F04: D2890052 00012703
	s_lshr_b32 s61, s82, 24                                    // 000000008F0C: 8F3D9852
	s_and_b32 s82, s82, 0xffffff                               // 000000008F10: 8652FF52 00FFFFFF
	s_mul_i32 s82, s82, s71                                    // 000000008F18: 92524752
	s_mul_i32 s61, s60, s61                                    // 000000008F1C: 923D3D3C
	s_add_u32 s82, s82, s61                                    // 000000008F20: 80523D52
	v_mul_lo_u32 v7, v4, s82                                   // 000000008F24: D2850007 0000A504
	v_add_u32_e32 v65, v6, v7                                  // 000000008F2C: 68820F06
	v_readlane_b32 s82, v3, 20                                 // 000000008F30: D2890052 00012903
	s_lshr_b32 s61, s82, 24                                    // 000000008F38: 8F3D9852
	s_and_b32 s82, s82, 0xffffff                               // 000000008F3C: 8652FF52 00FFFFFF
	s_mul_i32 s82, s82, s71                                    // 000000008F44: 92524752
	s_mul_i32 s61, s60, s61                                    // 000000008F48: 923D3D3C
	s_add_u32 s82, s82, s61                                    // 000000008F4C: 80523D52
	v_mul_lo_u32 v6, v5, s82                                   // 000000008F50: D2850006 0000A505
	v_readlane_b32 s82, v3, 21                                 // 000000008F58: D2890052 00012B03
	s_lshr_b32 s61, s82, 24                                    // 000000008F60: 8F3D9852
	s_and_b32 s82, s82, 0xffffff                               // 000000008F64: 8652FF52 00FFFFFF
	s_mul_i32 s82, s82, s71                                    // 000000008F6C: 92524752
	s_mul_i32 s61, s60, s61                                    // 000000008F70: 923D3D3C
	s_add_u32 s82, s82, s61                                    // 000000008F74: 80523D52
	v_mul_lo_u32 v7, v4, s82                                   // 000000008F78: D2850007 0000A504
	v_add_u32_e32 v66, v6, v7                                  // 000000008F80: 68840F06
	v_readlane_b32 s82, v3, 22                                 // 000000008F84: D2890052 00012D03
	s_lshr_b32 s61, s82, 24                                    // 000000008F8C: 8F3D9852
	s_and_b32 s82, s82, 0xffffff                               // 000000008F90: 8652FF52 00FFFFFF
	s_mul_i32 s82, s82, s71                                    // 000000008F98: 92524752
	s_mul_i32 s61, s60, s61                                    // 000000008F9C: 923D3D3C
	s_add_u32 s82, s82, s61                                    // 000000008FA0: 80523D52
	v_mul_lo_u32 v6, v5, s82                                   // 000000008FA4: D2850006 0000A505
	v_readlane_b32 s82, v3, 23                                 // 000000008FAC: D2890052 00012F03
	s_lshr_b32 s61, s82, 24                                    // 000000008FB4: 8F3D9852
	s_and_b32 s82, s82, 0xffffff                               // 000000008FB8: 8652FF52 00FFFFFF
	s_mul_i32 s82, s82, s71                                    // 000000008FC0: 92524752
	s_mul_i32 s61, s60, s61                                    // 000000008FC4: 923D3D3C
	s_add_u32 s82, s82, s61                                    // 000000008FC8: 80523D52
	v_mul_lo_u32 v7, v4, s82                                   // 000000008FCC: D2850007 0000A504
	v_add_u32_e32 v67, v6, v7                                  // 000000008FD4: 68860F06
	v_readlane_b32 s82, v3, 24                                 // 000000008FD8: D2890052 00013103
	s_lshr_b32 s61, s82, 24                                    // 000000008FE0: 8F3D9852
	s_and_b32 s82, s82, 0xffffff                               // 000000008FE4: 8652FF52 00FFFFFF
	s_mul_i32 s82, s82, s71                                    // 000000008FEC: 92524752
	s_mul_i32 s61, s60, s61                                    // 000000008FF0: 923D3D3C
	s_add_u32 s82, s82, s61                                    // 000000008FF4: 80523D52
	v_mul_lo_u32 v6, v5, s82                                   // 000000008FF8: D2850006 0000A505
	v_readlane_b32 s82, v3, 25                                 // 000000009000: D2890052 00013303
	s_lshr_b32 s61, s82, 24                                    // 000000009008: 8F3D9852
	s_and_b32 s82, s82, 0xffffff                               // 00000000900C: 8652FF52 00FFFFFF
	s_mul_i32 s82, s82, s71                                    // 000000009014: 92524752
	s_mul_i32 s61, s60, s61                                    // 000000009018: 923D3D3C
	s_add_u32 s82, s82, s61                                    // 00000000901C: 80523D52
	v_mul_lo_u32 v7, v4, s82                                   // 000000009020: D2850007 0000A504
	v_add_u32_e32 v68, v6, v7                                  // 000000009028: 68880F06
	v_readlane_b32 s82, v3, 26                                 // 00000000902C: D2890052 00013503
	s_lshr_b32 s61, s82, 24                                    // 000000009034: 8F3D9852
	s_and_b32 s82, s82, 0xffffff                               // 000000009038: 8652FF52 00FFFFFF
	s_mul_i32 s82, s82, s71                                    // 000000009040: 92524752
	s_mul_i32 s61, s60, s61                                    // 000000009044: 923D3D3C
	s_add_u32 s82, s82, s61                                    // 000000009048: 80523D52
	v_mul_lo_u32 v6, v5, s82                                   // 00000000904C: D2850006 0000A505
	v_readlane_b32 s82, v3, 27                                 // 000000009054: D2890052 00013703
	s_lshr_b32 s61, s82, 24                                    // 00000000905C: 8F3D9852
	s_and_b32 s82, s82, 0xffffff                               // 000000009060: 8652FF52 00FFFFFF
	s_mul_i32 s82, s82, s71                                    // 000000009068: 92524752
	s_mul_i32 s61, s60, s61                                    // 00000000906C: 923D3D3C
	s_add_u32 s82, s82, s61                                    // 000000009070: 80523D52
	v_mul_lo_u32 v7, v4, s82                                   // 000000009074: D2850007 0000A504
	v_add_u32_e32 v69, v6, v7                                  // 00000000907C: 688A0F06
	v_and_b32_e32 v4, 31, v0                                   // 000000009080: 2608009F
	v_lshrrev_b32_e32 v4, 1, v4                                // 000000009084: 20080881
	s_cmp_eq_u32 s88, 0                                        // 000000009088: BF068058
	s_cselect_b32 s61, 2, 4                                    // 00000000908C: 853D8482
	v_mul_lo_u32 v4, v4, s61                                   // 000000009090: D2850004 00007B04
	v_and_b32_e64 v5, v0, 1                                    // 000000009098: D1130005 00010300
	v_add_u32_e32 v4, v4, v5                                   // 0000000090A0: 68080B04
	v_lshlrev_b32_e32 v4, 2, v4                                // 0000000090A4: 24080882
	v_add_u32_e32 v56, v56, v4                                 // 0000000090A8: 68700938
	v_add_u32_e32 v57, v57, v4                                 // 0000000090AC: 68720939
	v_add_u32_e32 v58, v58, v4                                 // 0000000090B0: 6874093A
	v_add_u32_e32 v59, v59, v4                                 // 0000000090B4: 6876093B
	v_add_u32_e32 v60, v60, v4                                 // 0000000090B8: 6878093C
	v_add_u32_e32 v61, v61, v4                                 // 0000000090BC: 687A093D
	v_add_u32_e32 v62, v62, v4                                 // 0000000090C0: 687C093E
	v_add_u32_e32 v63, v63, v4                                 // 0000000090C4: 687E093F
	v_add_u32_e32 v64, v64, v4                                 // 0000000090C8: 68800940
	v_add_u32_e32 v65, v65, v4                                 // 0000000090CC: 68820941
	v_add_u32_e32 v66, v66, v4                                 // 0000000090D0: 68840942
	v_add_u32_e32 v67, v67, v4                                 // 0000000090D4: 68860943
	v_add_u32_e32 v68, v68, v4                                 // 0000000090D8: 68880944
	v_add_u32_e32 v69, v69, v4                                 // 0000000090DC: 688A0945
	s_waitcnt lgkmcnt(0)                                       // 0000000090E0: BF8CC07F
	s_barrier                                                  // 0000000090E4: BF8A0000
	ds_read_b32 v72, v21                                       // 0000000090E8: D86C0000 48000015
	ds_read_b32 v73, v21 offset:64                             // 0000000090F0: D86C0040 49000015
	ds_read_b32 v76, v21 offset:2176                           // 0000000090F8: D86C0880 4C000015
	ds_read_b32 v77, v21 offset:2240                           // 000000009100: D86C08C0 4D000015
	ds_read_b32 v80, v21 offset:4352                           // 000000009108: D86C1100 50000015
	ds_read_b32 v81, v21 offset:4416                           // 000000009110: D86C1140 51000015
	ds_read_b32 v84, v21 offset:6528                           // 000000009118: D86C1980 54000015
	ds_read_b32 v85, v21 offset:6592                           // 000000009120: D86C19C0 55000015
	ds_read_b32 v88, v21 offset:8704                           // 000000009128: D86C2200 58000015
	ds_read_b32 v89, v21 offset:8768                           // 000000009130: D86C2240 59000015
	ds_read_b32 v92, v21 offset:10880                          // 000000009138: D86C2A80 5C000015
	ds_read_b32 v93, v21 offset:10944                          // 000000009140: D86C2AC0 5D000015
	ds_read_b32 v96, v21 offset:13056                          // 000000009148: D86C3300 60000015
	ds_read_b32 v97, v21 offset:13120                          // 000000009150: D86C3340 61000015
	s_waitcnt lgkmcnt(0)                                       // 000000009158: BF8CC07F
	s_mov_b32 s36, -1                                          // 00000000915C: BEA400C1
	s_mov_b32 s37, -1                                          // 000000009160: BEA500C1
	v_mov_b32_e32 v7, 0                                        // 000000009164: 7E0E0280
	s_mov_b64 exec, s[36:37]                                   // 000000009168: BEFE0124
	v_mov_b32_e32 v6, v56                                      // 00000000916C: 7E0C0338
	s_mov_b64 s[60:61], 0                                      // 000000009170: BEBC0180
	v_readlane_b32 s82, v3, 0                                  // 000000009174: D2890052 00010103
	s_and_b32 s82, s82, 0xffffff                               // 00000000917C: 8652FF52 00FFFFFF
	s_cmp_lt_u32 s82, s66                                      // 000000009184: BF0A4252
	s_cselect_b32 s20, s36, s60                                // 000000009188: 85143C24
	v_readlane_b32 s82, v3, 1                                  // 00000000918C: D2890052 00010303
	s_and_b32 s82, s82, 0xffffff                               // 000000009194: 8652FF52 00FFFFFF
	s_cmp_lt_u32 s82, s66                                      // 00000000919C: BF0A4252
	s_cselect_b32 s21, s36, s60                                // 0000000091A0: 85153C24
	s_mov_b64 exec, s[20:21]                                   // 0000000091A4: BEFE0114
	global_atomic_add_f32 v6, v72, s[8:9]                      // 0000000091A8: DD348000 00084806
	s_mov_b64 exec, s[36:37]                                   // 0000000091B0: BEFE0124
	v_mov_b32_e32 v6, v57                                      // 0000000091B4: 7E0C0339
	s_mov_b64 s[60:61], 0                                      // 0000000091B8: BEBC0180
	v_readlane_b32 s82, v3, 2                                  // 0000000091BC: D2890052 00010503
	s_and_b32 s82, s82, 0xffffff                               // 0000000091C4: 8652FF52 00FFFFFF
	s_cmp_lt_u32 s82, s66                                      // 0000000091CC: BF0A4252
	s_cselect_b32 s20, s36, s60                                // 0000000091D0: 85143C24
	v_readlane_b32 s82, v3, 3                                  // 0000000091D4: D2890052 00010703
	s_and_b32 s82, s82, 0xffffff                               // 0000000091DC: 8652FF52 00FFFFFF
	s_cmp_lt_u32 s82, s66                                      // 0000000091E4: BF0A4252
	s_cselect_b32 s21, s36, s60                                // 0000000091E8: 85153C24
	s_mov_b64 exec, s[20:21]                                   // 0000000091EC: BEFE0114
	global_atomic_add_f32 v6, v73, s[8:9]                      // 0000000091F0: DD348000 00084906
	s_mov_b64 exec, s[36:37]                                   // 0000000091F8: BEFE0124
	v_mov_b32_e32 v6, v58                                      // 0000000091FC: 7E0C033A
	s_mov_b64 s[60:61], 0                                      // 000000009200: BEBC0180
	v_readlane_b32 s82, v3, 4                                  // 000000009204: D2890052 00010903
	s_and_b32 s82, s82, 0xffffff                               // 00000000920C: 8652FF52 00FFFFFF
	s_cmp_lt_u32 s82, s66                                      // 000000009214: BF0A4252
	s_cselect_b32 s20, s36, s60                                // 000000009218: 85143C24
	v_readlane_b32 s82, v3, 5                                  // 00000000921C: D2890052 00010B03
	s_and_b32 s82, s82, 0xffffff                               // 000000009224: 8652FF52 00FFFFFF
	s_cmp_lt_u32 s82, s66                                      // 00000000922C: BF0A4252
	s_cselect_b32 s21, s36, s60                                // 000000009230: 85153C24
	s_mov_b64 exec, s[20:21]                                   // 000000009234: BEFE0114
	global_atomic_add_f32 v6, v76, s[8:9]                      // 000000009238: DD348000 00084C06
	s_mov_b64 exec, s[36:37]                                   // 000000009240: BEFE0124
	v_mov_b32_e32 v6, v59                                      // 000000009244: 7E0C033B
	s_mov_b64 s[60:61], 0                                      // 000000009248: BEBC0180
	v_readlane_b32 s82, v3, 6                                  // 00000000924C: D2890052 00010D03
	s_and_b32 s82, s82, 0xffffff                               // 000000009254: 8652FF52 00FFFFFF
	s_cmp_lt_u32 s82, s66                                      // 00000000925C: BF0A4252
	s_cselect_b32 s20, s36, s60                                // 000000009260: 85143C24
	v_readlane_b32 s82, v3, 7                                  // 000000009264: D2890052 00010F03
	s_and_b32 s82, s82, 0xffffff                               // 00000000926C: 8652FF52 00FFFFFF
	s_cmp_lt_u32 s82, s66                                      // 000000009274: BF0A4252
	s_cselect_b32 s21, s36, s60                                // 000000009278: 85153C24
	s_mov_b64 exec, s[20:21]                                   // 00000000927C: BEFE0114
	global_atomic_add_f32 v6, v77, s[8:9]                      // 000000009280: DD348000 00084D06
	s_mov_b64 exec, s[36:37]                                   // 000000009288: BEFE0124
	v_mov_b32_e32 v6, v60                                      // 00000000928C: 7E0C033C
	s_mov_b64 s[60:61], 0                                      // 000000009290: BEBC0180
	v_readlane_b32 s82, v3, 8                                  // 000000009294: D2890052 00011103
	s_and_b32 s82, s82, 0xffffff                               // 00000000929C: 8652FF52 00FFFFFF
	s_cmp_lt_u32 s82, s66                                      // 0000000092A4: BF0A4252
	s_cselect_b32 s20, s36, s60                                // 0000000092A8: 85143C24
	v_readlane_b32 s82, v3, 9                                  // 0000000092AC: D2890052 00011303
	s_and_b32 s82, s82, 0xffffff                               // 0000000092B4: 8652FF52 00FFFFFF
	s_cmp_lt_u32 s82, s66                                      // 0000000092BC: BF0A4252
	s_cselect_b32 s21, s36, s60                                // 0000000092C0: 85153C24
	s_mov_b64 exec, s[20:21]                                   // 0000000092C4: BEFE0114
	global_atomic_add_f32 v6, v80, s[8:9]                      // 0000000092C8: DD348000 00085006
	s_mov_b64 exec, s[36:37]                                   // 0000000092D0: BEFE0124
	v_mov_b32_e32 v6, v61                                      // 0000000092D4: 7E0C033D
	s_mov_b64 s[60:61], 0                                      // 0000000092D8: BEBC0180
	v_readlane_b32 s82, v3, 10                                 // 0000000092DC: D2890052 00011503
	s_and_b32 s82, s82, 0xffffff                               // 0000000092E4: 8652FF52 00FFFFFF
	s_cmp_lt_u32 s82, s66                                      // 0000000092EC: BF0A4252
	s_cselect_b32 s20, s36, s60                                // 0000000092F0: 85143C24
	v_readlane_b32 s82, v3, 11                                 // 0000000092F4: D2890052 00011703
	s_and_b32 s82, s82, 0xffffff                               // 0000000092FC: 8652FF52 00FFFFFF
	s_cmp_lt_u32 s82, s66                                      // 000000009304: BF0A4252
	s_cselect_b32 s21, s36, s60                                // 000000009308: 85153C24
	s_mov_b64 exec, s[20:21]                                   // 00000000930C: BEFE0114
	global_atomic_add_f32 v6, v81, s[8:9]                      // 000000009310: DD348000 00085106
	s_mov_b64 exec, s[36:37]                                   // 000000009318: BEFE0124
	v_mov_b32_e32 v6, v62                                      // 00000000931C: 7E0C033E
	s_mov_b64 s[60:61], 0                                      // 000000009320: BEBC0180
	v_readlane_b32 s82, v3, 12                                 // 000000009324: D2890052 00011903
	s_and_b32 s82, s82, 0xffffff                               // 00000000932C: 8652FF52 00FFFFFF
	s_cmp_lt_u32 s82, s66                                      // 000000009334: BF0A4252
	s_cselect_b32 s20, s36, s60                                // 000000009338: 85143C24
	v_readlane_b32 s82, v3, 13                                 // 00000000933C: D2890052 00011B03
	s_and_b32 s82, s82, 0xffffff                               // 000000009344: 8652FF52 00FFFFFF
	s_cmp_lt_u32 s82, s66                                      // 00000000934C: BF0A4252
	s_cselect_b32 s21, s36, s60                                // 000000009350: 85153C24
	s_mov_b64 exec, s[20:21]                                   // 000000009354: BEFE0114
	global_atomic_add_f32 v6, v84, s[8:9]                      // 000000009358: DD348000 00085406
	s_mov_b64 exec, s[36:37]                                   // 000000009360: BEFE0124
	v_mov_b32_e32 v6, v63                                      // 000000009364: 7E0C033F
	s_mov_b64 s[60:61], 0                                      // 000000009368: BEBC0180
	v_readlane_b32 s82, v3, 14                                 // 00000000936C: D2890052 00011D03
	s_and_b32 s82, s82, 0xffffff                               // 000000009374: 8652FF52 00FFFFFF
	s_cmp_lt_u32 s82, s66                                      // 00000000937C: BF0A4252
	s_cselect_b32 s20, s36, s60                                // 000000009380: 85143C24
	v_readlane_b32 s82, v3, 15                                 // 000000009384: D2890052 00011F03
	s_and_b32 s82, s82, 0xffffff                               // 00000000938C: 8652FF52 00FFFFFF
	s_cmp_lt_u32 s82, s66                                      // 000000009394: BF0A4252
	s_cselect_b32 s21, s36, s60                                // 000000009398: 85153C24
	s_mov_b64 exec, s[20:21]                                   // 00000000939C: BEFE0114
	global_atomic_add_f32 v6, v85, s[8:9]                      // 0000000093A0: DD348000 00085506
	s_mov_b64 exec, s[36:37]                                   // 0000000093A8: BEFE0124
	v_mov_b32_e32 v6, v64                                      // 0000000093AC: 7E0C0340
	s_mov_b64 s[60:61], 0                                      // 0000000093B0: BEBC0180
	v_readlane_b32 s82, v3, 16                                 // 0000000093B4: D2890052 00012103
	s_and_b32 s82, s82, 0xffffff                               // 0000000093BC: 8652FF52 00FFFFFF
	s_cmp_lt_u32 s82, s66                                      // 0000000093C4: BF0A4252
	s_cselect_b32 s20, s36, s60                                // 0000000093C8: 85143C24
	v_readlane_b32 s82, v3, 17                                 // 0000000093CC: D2890052 00012303
	s_and_b32 s82, s82, 0xffffff                               // 0000000093D4: 8652FF52 00FFFFFF
	s_cmp_lt_u32 s82, s66                                      // 0000000093DC: BF0A4252
	s_cselect_b32 s21, s36, s60                                // 0000000093E0: 85153C24
	s_mov_b64 exec, s[20:21]                                   // 0000000093E4: BEFE0114
	global_atomic_add_f32 v6, v88, s[8:9]                      // 0000000093E8: DD348000 00085806
	s_mov_b64 exec, s[36:37]                                   // 0000000093F0: BEFE0124
	v_mov_b32_e32 v6, v65                                      // 0000000093F4: 7E0C0341
	s_mov_b64 s[60:61], 0                                      // 0000000093F8: BEBC0180
	v_readlane_b32 s82, v3, 18                                 // 0000000093FC: D2890052 00012503
	s_and_b32 s82, s82, 0xffffff                               // 000000009404: 8652FF52 00FFFFFF
	s_cmp_lt_u32 s82, s66                                      // 00000000940C: BF0A4252
	s_cselect_b32 s20, s36, s60                                // 000000009410: 85143C24
	v_readlane_b32 s82, v3, 19                                 // 000000009414: D2890052 00012703
	s_and_b32 s82, s82, 0xffffff                               // 00000000941C: 8652FF52 00FFFFFF
	s_cmp_lt_u32 s82, s66                                      // 000000009424: BF0A4252
	s_cselect_b32 s21, s36, s60                                // 000000009428: 85153C24
	s_mov_b64 exec, s[20:21]                                   // 00000000942C: BEFE0114
	global_atomic_add_f32 v6, v89, s[8:9]                      // 000000009430: DD348000 00085906
	s_mov_b64 exec, s[36:37]                                   // 000000009438: BEFE0124
	v_mov_b32_e32 v6, v66                                      // 00000000943C: 7E0C0342
	s_mov_b64 s[60:61], 0                                      // 000000009440: BEBC0180
	v_readlane_b32 s82, v3, 20                                 // 000000009444: D2890052 00012903
	s_and_b32 s82, s82, 0xffffff                               // 00000000944C: 8652FF52 00FFFFFF
	s_cmp_lt_u32 s82, s66                                      // 000000009454: BF0A4252
	s_cselect_b32 s20, s36, s60                                // 000000009458: 85143C24
	v_readlane_b32 s82, v3, 21                                 // 00000000945C: D2890052 00012B03
	s_and_b32 s82, s82, 0xffffff                               // 000000009464: 8652FF52 00FFFFFF
	s_cmp_lt_u32 s82, s66                                      // 00000000946C: BF0A4252
	s_cselect_b32 s21, s36, s60                                // 000000009470: 85153C24
	s_mov_b64 exec, s[20:21]                                   // 000000009474: BEFE0114
	global_atomic_add_f32 v6, v92, s[8:9]                      // 000000009478: DD348000 00085C06
	s_mov_b64 exec, s[36:37]                                   // 000000009480: BEFE0124
	v_mov_b32_e32 v6, v67                                      // 000000009484: 7E0C0343
	s_mov_b64 s[60:61], 0                                      // 000000009488: BEBC0180
	v_readlane_b32 s82, v3, 22                                 // 00000000948C: D2890052 00012D03
	s_and_b32 s82, s82, 0xffffff                               // 000000009494: 8652FF52 00FFFFFF
	s_cmp_lt_u32 s82, s66                                      // 00000000949C: BF0A4252
	s_cselect_b32 s20, s36, s60                                // 0000000094A0: 85143C24
	v_readlane_b32 s82, v3, 23                                 // 0000000094A4: D2890052 00012F03
	s_and_b32 s82, s82, 0xffffff                               // 0000000094AC: 8652FF52 00FFFFFF
	s_cmp_lt_u32 s82, s66                                      // 0000000094B4: BF0A4252
	s_cselect_b32 s21, s36, s60                                // 0000000094B8: 85153C24
	s_mov_b64 exec, s[20:21]                                   // 0000000094BC: BEFE0114
	global_atomic_add_f32 v6, v93, s[8:9]                      // 0000000094C0: DD348000 00085D06
	s_mov_b64 exec, s[36:37]                                   // 0000000094C8: BEFE0124
	v_mov_b32_e32 v6, v68                                      // 0000000094CC: 7E0C0344
	s_mov_b64 s[60:61], 0                                      // 0000000094D0: BEBC0180
	v_readlane_b32 s82, v3, 24                                 // 0000000094D4: D2890052 00013103
	s_and_b32 s82, s82, 0xffffff                               // 0000000094DC: 8652FF52 00FFFFFF
	s_cmp_lt_u32 s82, s66                                      // 0000000094E4: BF0A4252
	s_cselect_b32 s20, s36, s60                                // 0000000094E8: 85143C24
	v_readlane_b32 s82, v3, 25                                 // 0000000094EC: D2890052 00013303
	s_and_b32 s82, s82, 0xffffff                               // 0000000094F4: 8652FF52 00FFFFFF
	s_cmp_lt_u32 s82, s66                                      // 0000000094FC: BF0A4252
	s_cselect_b32 s21, s36, s60                                // 000000009500: 85153C24
	s_mov_b64 exec, s[20:21]                                   // 000000009504: BEFE0114
	global_atomic_add_f32 v6, v96, s[8:9]                      // 000000009508: DD348000 00086006
	s_mov_b64 exec, s[36:37]                                   // 000000009510: BEFE0124
	v_mov_b32_e32 v6, v69                                      // 000000009514: 7E0C0345
	s_mov_b64 s[60:61], 0                                      // 000000009518: BEBC0180
	v_readlane_b32 s82, v3, 26                                 // 00000000951C: D2890052 00013503
	s_and_b32 s82, s82, 0xffffff                               // 000000009524: 8652FF52 00FFFFFF
	s_cmp_lt_u32 s82, s66                                      // 00000000952C: BF0A4252
	s_cselect_b32 s20, s36, s60                                // 000000009530: 85143C24
	v_readlane_b32 s82, v3, 27                                 // 000000009534: D2890052 00013703
	s_and_b32 s82, s82, 0xffffff                               // 00000000953C: 8652FF52 00FFFFFF
	s_cmp_lt_u32 s82, s66                                      // 000000009544: BF0A4252
	s_cselect_b32 s21, s36, s60                                // 000000009548: 85153C24
	s_mov_b64 exec, s[20:21]                                   // 00000000954C: BEFE0114
	global_atomic_add_f32 v6, v97, s[8:9]                      // 000000009550: DD348000 00086106
	s_mov_b64 exec, s[36:37]                                   // 000000009558: BEFE0124
	ds_write_b64 v20, v[74:75]                                 // 00000000955C: D89A0000 00004A14
	ds_write_b64 v20, v[78:79] offset:2176                     // 000000009564: D89A0880 00004E14
	ds_write_b64 v20, v[82:83] offset:4352                     // 00000000956C: D89A1100 00005214
	ds_write_b64 v20, v[86:87] offset:6528                     // 000000009574: D89A1980 00005614
	ds_write_b64 v20, v[90:91] offset:8704                     // 00000000957C: D89A2200 00005A14
	ds_write_b64 v20, v[94:95] offset:10880                    // 000000009584: D89A2A80 00005E14
	ds_write_b64 v20, v[98:99] offset:13056                    // 00000000958C: D89A3300 00006214
	s_waitcnt lgkmcnt(0)                                       // 000000009594: BF8CC07F
	s_barrier                                                  // 000000009598: BF8A0000
	ds_read_b32 v74, v21                                       // 00000000959C: D86C0000 4A000015
	ds_read_b32 v75, v21 offset:64                             // 0000000095A4: D86C0040 4B000015
	ds_read_b32 v78, v21 offset:2176                           // 0000000095AC: D86C0880 4E000015
	ds_read_b32 v79, v21 offset:2240                           // 0000000095B4: D86C08C0 4F000015
	ds_read_b32 v82, v21 offset:4352                           // 0000000095BC: D86C1100 52000015
	ds_read_b32 v83, v21 offset:4416                           // 0000000095C4: D86C1140 53000015
	ds_read_b32 v86, v21 offset:6528                           // 0000000095CC: D86C1980 56000015
	ds_read_b32 v87, v21 offset:6592                           // 0000000095D4: D86C19C0 57000015
	ds_read_b32 v90, v21 offset:8704                           // 0000000095DC: D86C2200 5A000015
	ds_read_b32 v91, v21 offset:8768                           // 0000000095E4: D86C2240 5B000015
	ds_read_b32 v94, v21 offset:10880                          // 0000000095EC: D86C2A80 5E000015
	ds_read_b32 v95, v21 offset:10944                          // 0000000095F4: D86C2AC0 5F000015
	ds_read_b32 v98, v21 offset:13056                          // 0000000095FC: D86C3300 62000015
	ds_read_b32 v99, v21 offset:13120                          // 000000009604: D86C3340 63000015
	s_waitcnt lgkmcnt(0)                                       // 00000000960C: BF8CC07F
	v_mov_b32_e32 v7, 0                                        // 000000009610: 7E0E0280
	s_mov_b64 exec, s[36:37]                                   // 000000009614: BEFE0124
	v_mov_b32_e32 v6, v56                                      // 000000009618: 7E0C0338
	s_mov_b64 s[60:61], 0                                      // 00000000961C: BEBC0180
	v_readlane_b32 s82, v3, 0                                  // 000000009620: D2890052 00010103
	s_and_b32 s82, s82, 0xffffff                               // 000000009628: 8652FF52 00FFFFFF
	s_cmp_lt_u32 s82, s66                                      // 000000009630: BF0A4252
	s_cselect_b32 s20, s36, s60                                // 000000009634: 85143C24
	v_readlane_b32 s82, v3, 1                                  // 000000009638: D2890052 00010303
	s_and_b32 s82, s82, 0xffffff                               // 000000009640: 8652FF52 00FFFFFF
	s_cmp_lt_u32 s82, s66                                      // 000000009648: BF0A4252
	s_cselect_b32 s21, s36, s60                                // 00000000964C: 85153C24
	s_mov_b64 exec, s[20:21]                                   // 000000009650: BEFE0114
	global_atomic_add_f32 v6, v74, s[8:9] offset:8             // 000000009654: DD348008 00084A06
	s_mov_b64 exec, s[36:37]                                   // 00000000965C: BEFE0124
	v_mov_b32_e32 v6, v57                                      // 000000009660: 7E0C0339
	s_mov_b64 s[60:61], 0                                      // 000000009664: BEBC0180
	v_readlane_b32 s82, v3, 2                                  // 000000009668: D2890052 00010503
	s_and_b32 s82, s82, 0xffffff                               // 000000009670: 8652FF52 00FFFFFF
	s_cmp_lt_u32 s82, s66                                      // 000000009678: BF0A4252
	s_cselect_b32 s20, s36, s60                                // 00000000967C: 85143C24
	v_readlane_b32 s82, v3, 3                                  // 000000009680: D2890052 00010703
	s_and_b32 s82, s82, 0xffffff                               // 000000009688: 8652FF52 00FFFFFF
	s_cmp_lt_u32 s82, s66                                      // 000000009690: BF0A4252
	s_cselect_b32 s21, s36, s60                                // 000000009694: 85153C24
	s_mov_b64 exec, s[20:21]                                   // 000000009698: BEFE0114
	global_atomic_add_f32 v6, v75, s[8:9] offset:8             // 00000000969C: DD348008 00084B06
	s_mov_b64 exec, s[36:37]                                   // 0000000096A4: BEFE0124
	v_mov_b32_e32 v6, v58                                      // 0000000096A8: 7E0C033A
	s_mov_b64 s[60:61], 0                                      // 0000000096AC: BEBC0180
	v_readlane_b32 s82, v3, 4                                  // 0000000096B0: D2890052 00010903
	s_and_b32 s82, s82, 0xffffff                               // 0000000096B8: 8652FF52 00FFFFFF
	s_cmp_lt_u32 s82, s66                                      // 0000000096C0: BF0A4252
	s_cselect_b32 s20, s36, s60                                // 0000000096C4: 85143C24
	v_readlane_b32 s82, v3, 5                                  // 0000000096C8: D2890052 00010B03
	s_and_b32 s82, s82, 0xffffff                               // 0000000096D0: 8652FF52 00FFFFFF
	s_cmp_lt_u32 s82, s66                                      // 0000000096D8: BF0A4252
	s_cselect_b32 s21, s36, s60                                // 0000000096DC: 85153C24
	s_mov_b64 exec, s[20:21]                                   // 0000000096E0: BEFE0114
	global_atomic_add_f32 v6, v78, s[8:9] offset:8             // 0000000096E4: DD348008 00084E06
	s_mov_b64 exec, s[36:37]                                   // 0000000096EC: BEFE0124
	v_mov_b32_e32 v6, v59                                      // 0000000096F0: 7E0C033B
	s_mov_b64 s[60:61], 0                                      // 0000000096F4: BEBC0180
	v_readlane_b32 s82, v3, 6                                  // 0000000096F8: D2890052 00010D03
	s_and_b32 s82, s82, 0xffffff                               // 000000009700: 8652FF52 00FFFFFF
	s_cmp_lt_u32 s82, s66                                      // 000000009708: BF0A4252
	s_cselect_b32 s20, s36, s60                                // 00000000970C: 85143C24
	v_readlane_b32 s82, v3, 7                                  // 000000009710: D2890052 00010F03
	s_and_b32 s82, s82, 0xffffff                               // 000000009718: 8652FF52 00FFFFFF
	s_cmp_lt_u32 s82, s66                                      // 000000009720: BF0A4252
	s_cselect_b32 s21, s36, s60                                // 000000009724: 85153C24
	s_mov_b64 exec, s[20:21]                                   // 000000009728: BEFE0114
	global_atomic_add_f32 v6, v79, s[8:9] offset:8             // 00000000972C: DD348008 00084F06
	s_mov_b64 exec, s[36:37]                                   // 000000009734: BEFE0124
	v_mov_b32_e32 v6, v60                                      // 000000009738: 7E0C033C
	s_mov_b64 s[60:61], 0                                      // 00000000973C: BEBC0180
	v_readlane_b32 s82, v3, 8                                  // 000000009740: D2890052 00011103
	s_and_b32 s82, s82, 0xffffff                               // 000000009748: 8652FF52 00FFFFFF
	s_cmp_lt_u32 s82, s66                                      // 000000009750: BF0A4252
	s_cselect_b32 s20, s36, s60                                // 000000009754: 85143C24
	v_readlane_b32 s82, v3, 9                                  // 000000009758: D2890052 00011303
	s_and_b32 s82, s82, 0xffffff                               // 000000009760: 8652FF52 00FFFFFF
	s_cmp_lt_u32 s82, s66                                      // 000000009768: BF0A4252
	s_cselect_b32 s21, s36, s60                                // 00000000976C: 85153C24
	s_mov_b64 exec, s[20:21]                                   // 000000009770: BEFE0114
	global_atomic_add_f32 v6, v82, s[8:9] offset:8             // 000000009774: DD348008 00085206
	s_mov_b64 exec, s[36:37]                                   // 00000000977C: BEFE0124
	v_mov_b32_e32 v6, v61                                      // 000000009780: 7E0C033D
	s_mov_b64 s[60:61], 0                                      // 000000009784: BEBC0180
	v_readlane_b32 s82, v3, 10                                 // 000000009788: D2890052 00011503
	s_and_b32 s82, s82, 0xffffff                               // 000000009790: 8652FF52 00FFFFFF
	s_cmp_lt_u32 s82, s66                                      // 000000009798: BF0A4252
	s_cselect_b32 s20, s36, s60                                // 00000000979C: 85143C24
	v_readlane_b32 s82, v3, 11                                 // 0000000097A0: D2890052 00011703
	s_and_b32 s82, s82, 0xffffff                               // 0000000097A8: 8652FF52 00FFFFFF
	s_cmp_lt_u32 s82, s66                                      // 0000000097B0: BF0A4252
	s_cselect_b32 s21, s36, s60                                // 0000000097B4: 85153C24
	s_mov_b64 exec, s[20:21]                                   // 0000000097B8: BEFE0114
	global_atomic_add_f32 v6, v83, s[8:9] offset:8             // 0000000097BC: DD348008 00085306
	s_mov_b64 exec, s[36:37]                                   // 0000000097C4: BEFE0124
	v_mov_b32_e32 v6, v62                                      // 0000000097C8: 7E0C033E
	s_mov_b64 s[60:61], 0                                      // 0000000097CC: BEBC0180
	v_readlane_b32 s82, v3, 12                                 // 0000000097D0: D2890052 00011903
	s_and_b32 s82, s82, 0xffffff                               // 0000000097D8: 8652FF52 00FFFFFF
	s_cmp_lt_u32 s82, s66                                      // 0000000097E0: BF0A4252
	s_cselect_b32 s20, s36, s60                                // 0000000097E4: 85143C24
	v_readlane_b32 s82, v3, 13                                 // 0000000097E8: D2890052 00011B03
	s_and_b32 s82, s82, 0xffffff                               // 0000000097F0: 8652FF52 00FFFFFF
	s_cmp_lt_u32 s82, s66                                      // 0000000097F8: BF0A4252
	s_cselect_b32 s21, s36, s60                                // 0000000097FC: 85153C24
	s_mov_b64 exec, s[20:21]                                   // 000000009800: BEFE0114
	global_atomic_add_f32 v6, v86, s[8:9] offset:8             // 000000009804: DD348008 00085606
	s_mov_b64 exec, s[36:37]                                   // 00000000980C: BEFE0124
	v_mov_b32_e32 v6, v63                                      // 000000009810: 7E0C033F
	s_mov_b64 s[60:61], 0                                      // 000000009814: BEBC0180
	v_readlane_b32 s82, v3, 14                                 // 000000009818: D2890052 00011D03
	s_and_b32 s82, s82, 0xffffff                               // 000000009820: 8652FF52 00FFFFFF
	s_cmp_lt_u32 s82, s66                                      // 000000009828: BF0A4252
	s_cselect_b32 s20, s36, s60                                // 00000000982C: 85143C24
	v_readlane_b32 s82, v3, 15                                 // 000000009830: D2890052 00011F03
	s_and_b32 s82, s82, 0xffffff                               // 000000009838: 8652FF52 00FFFFFF
	s_cmp_lt_u32 s82, s66                                      // 000000009840: BF0A4252
	s_cselect_b32 s21, s36, s60                                // 000000009844: 85153C24
	s_mov_b64 exec, s[20:21]                                   // 000000009848: BEFE0114
	global_atomic_add_f32 v6, v87, s[8:9] offset:8             // 00000000984C: DD348008 00085706
	s_mov_b64 exec, s[36:37]                                   // 000000009854: BEFE0124
	v_mov_b32_e32 v6, v64                                      // 000000009858: 7E0C0340
	s_mov_b64 s[60:61], 0                                      // 00000000985C: BEBC0180
	v_readlane_b32 s82, v3, 16                                 // 000000009860: D2890052 00012103
	s_and_b32 s82, s82, 0xffffff                               // 000000009868: 8652FF52 00FFFFFF
	s_cmp_lt_u32 s82, s66                                      // 000000009870: BF0A4252
	s_cselect_b32 s20, s36, s60                                // 000000009874: 85143C24
	v_readlane_b32 s82, v3, 17                                 // 000000009878: D2890052 00012303
	s_and_b32 s82, s82, 0xffffff                               // 000000009880: 8652FF52 00FFFFFF
	s_cmp_lt_u32 s82, s66                                      // 000000009888: BF0A4252
	s_cselect_b32 s21, s36, s60                                // 00000000988C: 85153C24
	s_mov_b64 exec, s[20:21]                                   // 000000009890: BEFE0114
	global_atomic_add_f32 v6, v90, s[8:9] offset:8             // 000000009894: DD348008 00085A06
	s_mov_b64 exec, s[36:37]                                   // 00000000989C: BEFE0124
	v_mov_b32_e32 v6, v65                                      // 0000000098A0: 7E0C0341
	s_mov_b64 s[60:61], 0                                      // 0000000098A4: BEBC0180
	v_readlane_b32 s82, v3, 18                                 // 0000000098A8: D2890052 00012503
	s_and_b32 s82, s82, 0xffffff                               // 0000000098B0: 8652FF52 00FFFFFF
	s_cmp_lt_u32 s82, s66                                      // 0000000098B8: BF0A4252
	s_cselect_b32 s20, s36, s60                                // 0000000098BC: 85143C24
	v_readlane_b32 s82, v3, 19                                 // 0000000098C0: D2890052 00012703
	s_and_b32 s82, s82, 0xffffff                               // 0000000098C8: 8652FF52 00FFFFFF
	s_cmp_lt_u32 s82, s66                                      // 0000000098D0: BF0A4252
	s_cselect_b32 s21, s36, s60                                // 0000000098D4: 85153C24
	s_mov_b64 exec, s[20:21]                                   // 0000000098D8: BEFE0114
	global_atomic_add_f32 v6, v91, s[8:9] offset:8             // 0000000098DC: DD348008 00085B06
	s_mov_b64 exec, s[36:37]                                   // 0000000098E4: BEFE0124
	v_mov_b32_e32 v6, v66                                      // 0000000098E8: 7E0C0342
	s_mov_b64 s[60:61], 0                                      // 0000000098EC: BEBC0180
	v_readlane_b32 s82, v3, 20                                 // 0000000098F0: D2890052 00012903
	s_and_b32 s82, s82, 0xffffff                               // 0000000098F8: 8652FF52 00FFFFFF
	s_cmp_lt_u32 s82, s66                                      // 000000009900: BF0A4252
	s_cselect_b32 s20, s36, s60                                // 000000009904: 85143C24
	v_readlane_b32 s82, v3, 21                                 // 000000009908: D2890052 00012B03
	s_and_b32 s82, s82, 0xffffff                               // 000000009910: 8652FF52 00FFFFFF
	s_cmp_lt_u32 s82, s66                                      // 000000009918: BF0A4252
	s_cselect_b32 s21, s36, s60                                // 00000000991C: 85153C24
	s_mov_b64 exec, s[20:21]                                   // 000000009920: BEFE0114
	global_atomic_add_f32 v6, v94, s[8:9] offset:8             // 000000009924: DD348008 00085E06
	s_mov_b64 exec, s[36:37]                                   // 00000000992C: BEFE0124
	v_mov_b32_e32 v6, v67                                      // 000000009930: 7E0C0343
	s_mov_b64 s[60:61], 0                                      // 000000009934: BEBC0180
	v_readlane_b32 s82, v3, 22                                 // 000000009938: D2890052 00012D03
	s_and_b32 s82, s82, 0xffffff                               // 000000009940: 8652FF52 00FFFFFF
	s_cmp_lt_u32 s82, s66                                      // 000000009948: BF0A4252
	s_cselect_b32 s20, s36, s60                                // 00000000994C: 85143C24
	v_readlane_b32 s82, v3, 23                                 // 000000009950: D2890052 00012F03
	s_and_b32 s82, s82, 0xffffff                               // 000000009958: 8652FF52 00FFFFFF
	s_cmp_lt_u32 s82, s66                                      // 000000009960: BF0A4252
	s_cselect_b32 s21, s36, s60                                // 000000009964: 85153C24
	s_mov_b64 exec, s[20:21]                                   // 000000009968: BEFE0114
	global_atomic_add_f32 v6, v95, s[8:9] offset:8             // 00000000996C: DD348008 00085F06
	s_mov_b64 exec, s[36:37]                                   // 000000009974: BEFE0124
	v_mov_b32_e32 v6, v68                                      // 000000009978: 7E0C0344
	s_mov_b64 s[60:61], 0                                      // 00000000997C: BEBC0180
	v_readlane_b32 s82, v3, 24                                 // 000000009980: D2890052 00013103
	s_and_b32 s82, s82, 0xffffff                               // 000000009988: 8652FF52 00FFFFFF
	s_cmp_lt_u32 s82, s66                                      // 000000009990: BF0A4252
	s_cselect_b32 s20, s36, s60                                // 000000009994: 85143C24
	v_readlane_b32 s82, v3, 25                                 // 000000009998: D2890052 00013303
	s_and_b32 s82, s82, 0xffffff                               // 0000000099A0: 8652FF52 00FFFFFF
	s_cmp_lt_u32 s82, s66                                      // 0000000099A8: BF0A4252
	s_cselect_b32 s21, s36, s60                                // 0000000099AC: 85153C24
	s_mov_b64 exec, s[20:21]                                   // 0000000099B0: BEFE0114
	global_atomic_add_f32 v6, v98, s[8:9] offset:8             // 0000000099B4: DD348008 00086206
	s_mov_b64 exec, s[36:37]                                   // 0000000099BC: BEFE0124
	v_mov_b32_e32 v6, v69                                      // 0000000099C0: 7E0C0345
	s_mov_b64 s[60:61], 0                                      // 0000000099C4: BEBC0180
	v_readlane_b32 s82, v3, 26                                 // 0000000099C8: D2890052 00013503
	s_and_b32 s82, s82, 0xffffff                               // 0000000099D0: 8652FF52 00FFFFFF
	s_cmp_lt_u32 s82, s66                                      // 0000000099D8: BF0A4252
	s_cselect_b32 s20, s36, s60                                // 0000000099DC: 85143C24
	v_readlane_b32 s82, v3, 27                                 // 0000000099E0: D2890052 00013703
	s_and_b32 s82, s82, 0xffffff                               // 0000000099E8: 8652FF52 00FFFFFF
	s_cmp_lt_u32 s82, s66                                      // 0000000099F0: BF0A4252
	s_cselect_b32 s21, s36, s60                                // 0000000099F4: 85153C24
	s_mov_b64 exec, s[20:21]                                   // 0000000099F8: BEFE0114
	global_atomic_add_f32 v6, v99, s[8:9] offset:8             // 0000000099FC: DD348008 00086306
	s_mov_b64 exec, s[36:37]                                   // 000000009A04: BEFE0124
	ds_write_b64 v20, v[100:101]                               // 000000009A08: D89A0000 00006414
	ds_write_b64 v20, v[104:105] offset:2176                   // 000000009A10: D89A0880 00006814
	ds_write_b64 v20, v[108:109] offset:4352                   // 000000009A18: D89A1100 00006C14
	ds_write_b64 v20, v[112:113] offset:6528                   // 000000009A20: D89A1980 00007014
	ds_write_b64 v20, v[116:117] offset:8704                   // 000000009A28: D89A2200 00007414
	ds_write_b64 v20, v[120:121] offset:10880                  // 000000009A30: D89A2A80 00007814
	ds_write_b64 v20, v[124:125] offset:13056                  // 000000009A38: D89A3300 00007C14
	s_waitcnt lgkmcnt(0)                                       // 000000009A40: BF8CC07F
	s_barrier                                                  // 000000009A44: BF8A0000
	ds_read_b32 v100, v21                                      // 000000009A48: D86C0000 64000015
	ds_read_b32 v101, v21 offset:64                            // 000000009A50: D86C0040 65000015
	ds_read_b32 v104, v21 offset:2176                          // 000000009A58: D86C0880 68000015
	ds_read_b32 v105, v21 offset:2240                          // 000000009A60: D86C08C0 69000015
	ds_read_b32 v108, v21 offset:4352                          // 000000009A68: D86C1100 6C000015
	ds_read_b32 v109, v21 offset:4416                          // 000000009A70: D86C1140 6D000015
	ds_read_b32 v112, v21 offset:6528                          // 000000009A78: D86C1980 70000015
	ds_read_b32 v113, v21 offset:6592                          // 000000009A80: D86C19C0 71000015
	ds_read_b32 v116, v21 offset:8704                          // 000000009A88: D86C2200 74000015
	ds_read_b32 v117, v21 offset:8768                          // 000000009A90: D86C2240 75000015
	ds_read_b32 v120, v21 offset:10880                         // 000000009A98: D86C2A80 78000015
	ds_read_b32 v121, v21 offset:10944                         // 000000009AA0: D86C2AC0 79000015
	ds_read_b32 v124, v21 offset:13056                         // 000000009AA8: D86C3300 7C000015
	ds_read_b32 v125, v21 offset:13120                         // 000000009AB0: D86C3340 7D000015
	s_mul_i32 s60, s65, 4                                      // 000000009AB8: 923C8441
	s_add_u32 s8, s60, s8                                      // 000000009ABC: 8008083C
	s_addc_u32 s9, 0, s9                                       // 000000009AC0: 82090980
	s_waitcnt lgkmcnt(0)                                       // 000000009AC4: BF8CC07F
	v_mov_b32_e32 v7, 0                                        // 000000009AC8: 7E0E0280
	s_mov_b64 exec, s[36:37]                                   // 000000009ACC: BEFE0124
	v_mov_b32_e32 v6, v56                                      // 000000009AD0: 7E0C0338
	s_mov_b64 s[60:61], 0                                      // 000000009AD4: BEBC0180
	v_readlane_b32 s82, v3, 0                                  // 000000009AD8: D2890052 00010103
	s_and_b32 s82, s82, 0xffffff                               // 000000009AE0: 8652FF52 00FFFFFF
	s_cmp_lt_u32 s82, s66                                      // 000000009AE8: BF0A4252
	s_cselect_b32 s20, s36, s60                                // 000000009AEC: 85143C24
	v_readlane_b32 s82, v3, 1                                  // 000000009AF0: D2890052 00010303
	s_and_b32 s82, s82, 0xffffff                               // 000000009AF8: 8652FF52 00FFFFFF
	s_cmp_lt_u32 s82, s66                                      // 000000009B00: BF0A4252
	s_cselect_b32 s21, s36, s60                                // 000000009B04: 85153C24
	s_mov_b64 exec, s[20:21]                                   // 000000009B08: BEFE0114
	global_atomic_add_f32 v6, v100, s[8:9]                     // 000000009B0C: DD348000 00086406
	s_mov_b64 exec, s[36:37]                                   // 000000009B14: BEFE0124
	v_mov_b32_e32 v6, v57                                      // 000000009B18: 7E0C0339
	s_mov_b64 s[60:61], 0                                      // 000000009B1C: BEBC0180
	v_readlane_b32 s82, v3, 2                                  // 000000009B20: D2890052 00010503
	s_and_b32 s82, s82, 0xffffff                               // 000000009B28: 8652FF52 00FFFFFF
	s_cmp_lt_u32 s82, s66                                      // 000000009B30: BF0A4252
	s_cselect_b32 s20, s36, s60                                // 000000009B34: 85143C24
	v_readlane_b32 s82, v3, 3                                  // 000000009B38: D2890052 00010703
	s_and_b32 s82, s82, 0xffffff                               // 000000009B40: 8652FF52 00FFFFFF
	s_cmp_lt_u32 s82, s66                                      // 000000009B48: BF0A4252
	s_cselect_b32 s21, s36, s60                                // 000000009B4C: 85153C24
	s_mov_b64 exec, s[20:21]                                   // 000000009B50: BEFE0114
	global_atomic_add_f32 v6, v101, s[8:9]                     // 000000009B54: DD348000 00086506
	s_mov_b64 exec, s[36:37]                                   // 000000009B5C: BEFE0124
	v_mov_b32_e32 v6, v58                                      // 000000009B60: 7E0C033A
	s_mov_b64 s[60:61], 0                                      // 000000009B64: BEBC0180
	v_readlane_b32 s82, v3, 4                                  // 000000009B68: D2890052 00010903
	s_and_b32 s82, s82, 0xffffff                               // 000000009B70: 8652FF52 00FFFFFF
	s_cmp_lt_u32 s82, s66                                      // 000000009B78: BF0A4252
	s_cselect_b32 s20, s36, s60                                // 000000009B7C: 85143C24
	v_readlane_b32 s82, v3, 5                                  // 000000009B80: D2890052 00010B03
	s_and_b32 s82, s82, 0xffffff                               // 000000009B88: 8652FF52 00FFFFFF
	s_cmp_lt_u32 s82, s66                                      // 000000009B90: BF0A4252
	s_cselect_b32 s21, s36, s60                                // 000000009B94: 85153C24
	s_mov_b64 exec, s[20:21]                                   // 000000009B98: BEFE0114
	global_atomic_add_f32 v6, v104, s[8:9]                     // 000000009B9C: DD348000 00086806
	s_mov_b64 exec, s[36:37]                                   // 000000009BA4: BEFE0124
	v_mov_b32_e32 v6, v59                                      // 000000009BA8: 7E0C033B
	s_mov_b64 s[60:61], 0                                      // 000000009BAC: BEBC0180
	v_readlane_b32 s82, v3, 6                                  // 000000009BB0: D2890052 00010D03
	s_and_b32 s82, s82, 0xffffff                               // 000000009BB8: 8652FF52 00FFFFFF
	s_cmp_lt_u32 s82, s66                                      // 000000009BC0: BF0A4252
	s_cselect_b32 s20, s36, s60                                // 000000009BC4: 85143C24
	v_readlane_b32 s82, v3, 7                                  // 000000009BC8: D2890052 00010F03
	s_and_b32 s82, s82, 0xffffff                               // 000000009BD0: 8652FF52 00FFFFFF
	s_cmp_lt_u32 s82, s66                                      // 000000009BD8: BF0A4252
	s_cselect_b32 s21, s36, s60                                // 000000009BDC: 85153C24
	s_mov_b64 exec, s[20:21]                                   // 000000009BE0: BEFE0114
	global_atomic_add_f32 v6, v105, s[8:9]                     // 000000009BE4: DD348000 00086906
	s_mov_b64 exec, s[36:37]                                   // 000000009BEC: BEFE0124
	v_mov_b32_e32 v6, v60                                      // 000000009BF0: 7E0C033C
	s_mov_b64 s[60:61], 0                                      // 000000009BF4: BEBC0180
	v_readlane_b32 s82, v3, 8                                  // 000000009BF8: D2890052 00011103
	s_and_b32 s82, s82, 0xffffff                               // 000000009C00: 8652FF52 00FFFFFF
	s_cmp_lt_u32 s82, s66                                      // 000000009C08: BF0A4252
	s_cselect_b32 s20, s36, s60                                // 000000009C0C: 85143C24
	v_readlane_b32 s82, v3, 9                                  // 000000009C10: D2890052 00011303
	s_and_b32 s82, s82, 0xffffff                               // 000000009C18: 8652FF52 00FFFFFF
	s_cmp_lt_u32 s82, s66                                      // 000000009C20: BF0A4252
	s_cselect_b32 s21, s36, s60                                // 000000009C24: 85153C24
	s_mov_b64 exec, s[20:21]                                   // 000000009C28: BEFE0114
	global_atomic_add_f32 v6, v108, s[8:9]                     // 000000009C2C: DD348000 00086C06
	s_mov_b64 exec, s[36:37]                                   // 000000009C34: BEFE0124
	v_mov_b32_e32 v6, v61                                      // 000000009C38: 7E0C033D
	s_mov_b64 s[60:61], 0                                      // 000000009C3C: BEBC0180
	v_readlane_b32 s82, v3, 10                                 // 000000009C40: D2890052 00011503
	s_and_b32 s82, s82, 0xffffff                               // 000000009C48: 8652FF52 00FFFFFF
	s_cmp_lt_u32 s82, s66                                      // 000000009C50: BF0A4252
	s_cselect_b32 s20, s36, s60                                // 000000009C54: 85143C24
	v_readlane_b32 s82, v3, 11                                 // 000000009C58: D2890052 00011703
	s_and_b32 s82, s82, 0xffffff                               // 000000009C60: 8652FF52 00FFFFFF
	s_cmp_lt_u32 s82, s66                                      // 000000009C68: BF0A4252
	s_cselect_b32 s21, s36, s60                                // 000000009C6C: 85153C24
	s_mov_b64 exec, s[20:21]                                   // 000000009C70: BEFE0114
	global_atomic_add_f32 v6, v109, s[8:9]                     // 000000009C74: DD348000 00086D06
	s_mov_b64 exec, s[36:37]                                   // 000000009C7C: BEFE0124
	v_mov_b32_e32 v6, v62                                      // 000000009C80: 7E0C033E
	s_mov_b64 s[60:61], 0                                      // 000000009C84: BEBC0180
	v_readlane_b32 s82, v3, 12                                 // 000000009C88: D2890052 00011903
	s_and_b32 s82, s82, 0xffffff                               // 000000009C90: 8652FF52 00FFFFFF
	s_cmp_lt_u32 s82, s66                                      // 000000009C98: BF0A4252
	s_cselect_b32 s20, s36, s60                                // 000000009C9C: 85143C24
	v_readlane_b32 s82, v3, 13                                 // 000000009CA0: D2890052 00011B03
	s_and_b32 s82, s82, 0xffffff                               // 000000009CA8: 8652FF52 00FFFFFF
	s_cmp_lt_u32 s82, s66                                      // 000000009CB0: BF0A4252
	s_cselect_b32 s21, s36, s60                                // 000000009CB4: 85153C24
	s_mov_b64 exec, s[20:21]                                   // 000000009CB8: BEFE0114
	global_atomic_add_f32 v6, v112, s[8:9]                     // 000000009CBC: DD348000 00087006
	s_mov_b64 exec, s[36:37]                                   // 000000009CC4: BEFE0124
	v_mov_b32_e32 v6, v63                                      // 000000009CC8: 7E0C033F
	s_mov_b64 s[60:61], 0                                      // 000000009CCC: BEBC0180
	v_readlane_b32 s82, v3, 14                                 // 000000009CD0: D2890052 00011D03
	s_and_b32 s82, s82, 0xffffff                               // 000000009CD8: 8652FF52 00FFFFFF
	s_cmp_lt_u32 s82, s66                                      // 000000009CE0: BF0A4252
	s_cselect_b32 s20, s36, s60                                // 000000009CE4: 85143C24
	v_readlane_b32 s82, v3, 15                                 // 000000009CE8: D2890052 00011F03
	s_and_b32 s82, s82, 0xffffff                               // 000000009CF0: 8652FF52 00FFFFFF
	s_cmp_lt_u32 s82, s66                                      // 000000009CF8: BF0A4252
	s_cselect_b32 s21, s36, s60                                // 000000009CFC: 85153C24
	s_mov_b64 exec, s[20:21]                                   // 000000009D00: BEFE0114
	global_atomic_add_f32 v6, v113, s[8:9]                     // 000000009D04: DD348000 00087106
	s_mov_b64 exec, s[36:37]                                   // 000000009D0C: BEFE0124
	v_mov_b32_e32 v6, v64                                      // 000000009D10: 7E0C0340
	s_mov_b64 s[60:61], 0                                      // 000000009D14: BEBC0180
	v_readlane_b32 s82, v3, 16                                 // 000000009D18: D2890052 00012103
	s_and_b32 s82, s82, 0xffffff                               // 000000009D20: 8652FF52 00FFFFFF
	s_cmp_lt_u32 s82, s66                                      // 000000009D28: BF0A4252
	s_cselect_b32 s20, s36, s60                                // 000000009D2C: 85143C24
	v_readlane_b32 s82, v3, 17                                 // 000000009D30: D2890052 00012303
	s_and_b32 s82, s82, 0xffffff                               // 000000009D38: 8652FF52 00FFFFFF
	s_cmp_lt_u32 s82, s66                                      // 000000009D40: BF0A4252
	s_cselect_b32 s21, s36, s60                                // 000000009D44: 85153C24
	s_mov_b64 exec, s[20:21]                                   // 000000009D48: BEFE0114
	global_atomic_add_f32 v6, v116, s[8:9]                     // 000000009D4C: DD348000 00087406
	s_mov_b64 exec, s[36:37]                                   // 000000009D54: BEFE0124
	v_mov_b32_e32 v6, v65                                      // 000000009D58: 7E0C0341
	s_mov_b64 s[60:61], 0                                      // 000000009D5C: BEBC0180
	v_readlane_b32 s82, v3, 18                                 // 000000009D60: D2890052 00012503
	s_and_b32 s82, s82, 0xffffff                               // 000000009D68: 8652FF52 00FFFFFF
	s_cmp_lt_u32 s82, s66                                      // 000000009D70: BF0A4252
	s_cselect_b32 s20, s36, s60                                // 000000009D74: 85143C24
	v_readlane_b32 s82, v3, 19                                 // 000000009D78: D2890052 00012703
	s_and_b32 s82, s82, 0xffffff                               // 000000009D80: 8652FF52 00FFFFFF
	s_cmp_lt_u32 s82, s66                                      // 000000009D88: BF0A4252
	s_cselect_b32 s21, s36, s60                                // 000000009D8C: 85153C24
	s_mov_b64 exec, s[20:21]                                   // 000000009D90: BEFE0114
	global_atomic_add_f32 v6, v117, s[8:9]                     // 000000009D94: DD348000 00087506
	s_mov_b64 exec, s[36:37]                                   // 000000009D9C: BEFE0124
	v_mov_b32_e32 v6, v66                                      // 000000009DA0: 7E0C0342
	s_mov_b64 s[60:61], 0                                      // 000000009DA4: BEBC0180
	v_readlane_b32 s82, v3, 20                                 // 000000009DA8: D2890052 00012903
	s_and_b32 s82, s82, 0xffffff                               // 000000009DB0: 8652FF52 00FFFFFF
	s_cmp_lt_u32 s82, s66                                      // 000000009DB8: BF0A4252
	s_cselect_b32 s20, s36, s60                                // 000000009DBC: 85143C24
	v_readlane_b32 s82, v3, 21                                 // 000000009DC0: D2890052 00012B03
	s_and_b32 s82, s82, 0xffffff                               // 000000009DC8: 8652FF52 00FFFFFF
	s_cmp_lt_u32 s82, s66                                      // 000000009DD0: BF0A4252
	s_cselect_b32 s21, s36, s60                                // 000000009DD4: 85153C24
	s_mov_b64 exec, s[20:21]                                   // 000000009DD8: BEFE0114
	global_atomic_add_f32 v6, v120, s[8:9]                     // 000000009DDC: DD348000 00087806
	s_mov_b64 exec, s[36:37]                                   // 000000009DE4: BEFE0124
	v_mov_b32_e32 v6, v67                                      // 000000009DE8: 7E0C0343
	s_mov_b64 s[60:61], 0                                      // 000000009DEC: BEBC0180
	v_readlane_b32 s82, v3, 22                                 // 000000009DF0: D2890052 00012D03
	s_and_b32 s82, s82, 0xffffff                               // 000000009DF8: 8652FF52 00FFFFFF
	s_cmp_lt_u32 s82, s66                                      // 000000009E00: BF0A4252
	s_cselect_b32 s20, s36, s60                                // 000000009E04: 85143C24
	v_readlane_b32 s82, v3, 23                                 // 000000009E08: D2890052 00012F03
	s_and_b32 s82, s82, 0xffffff                               // 000000009E10: 8652FF52 00FFFFFF
	s_cmp_lt_u32 s82, s66                                      // 000000009E18: BF0A4252
	s_cselect_b32 s21, s36, s60                                // 000000009E1C: 85153C24
	s_mov_b64 exec, s[20:21]                                   // 000000009E20: BEFE0114
	global_atomic_add_f32 v6, v121, s[8:9]                     // 000000009E24: DD348000 00087906
	s_mov_b64 exec, s[36:37]                                   // 000000009E2C: BEFE0124
	v_mov_b32_e32 v6, v68                                      // 000000009E30: 7E0C0344
	s_mov_b64 s[60:61], 0                                      // 000000009E34: BEBC0180
	v_readlane_b32 s82, v3, 24                                 // 000000009E38: D2890052 00013103
	s_and_b32 s82, s82, 0xffffff                               // 000000009E40: 8652FF52 00FFFFFF
	s_cmp_lt_u32 s82, s66                                      // 000000009E48: BF0A4252
	s_cselect_b32 s20, s36, s60                                // 000000009E4C: 85143C24
	v_readlane_b32 s82, v3, 25                                 // 000000009E50: D2890052 00013303
	s_and_b32 s82, s82, 0xffffff                               // 000000009E58: 8652FF52 00FFFFFF
	s_cmp_lt_u32 s82, s66                                      // 000000009E60: BF0A4252
	s_cselect_b32 s21, s36, s60                                // 000000009E64: 85153C24
	s_mov_b64 exec, s[20:21]                                   // 000000009E68: BEFE0114
	global_atomic_add_f32 v6, v124, s[8:9]                     // 000000009E6C: DD348000 00087C06
	s_mov_b64 exec, s[36:37]                                   // 000000009E74: BEFE0124
	v_mov_b32_e32 v6, v69                                      // 000000009E78: 7E0C0345
	s_mov_b64 s[60:61], 0                                      // 000000009E7C: BEBC0180
	v_readlane_b32 s82, v3, 26                                 // 000000009E80: D2890052 00013503
	s_and_b32 s82, s82, 0xffffff                               // 000000009E88: 8652FF52 00FFFFFF
	s_cmp_lt_u32 s82, s66                                      // 000000009E90: BF0A4252
	s_cselect_b32 s20, s36, s60                                // 000000009E94: 85143C24
	v_readlane_b32 s82, v3, 27                                 // 000000009E98: D2890052 00013703
	s_and_b32 s82, s82, 0xffffff                               // 000000009EA0: 8652FF52 00FFFFFF
	s_cmp_lt_u32 s82, s66                                      // 000000009EA8: BF0A4252
	s_cselect_b32 s21, s36, s60                                // 000000009EAC: 85153C24
	s_mov_b64 exec, s[20:21]                                   // 000000009EB0: BEFE0114
	global_atomic_add_f32 v6, v125, s[8:9]                     // 000000009EB4: DD348000 00087D06
	s_mov_b64 exec, s[36:37]                                   // 000000009EBC: BEFE0124
	ds_write_b64 v20, v[102:103]                               // 000000009EC0: D89A0000 00006614
	ds_write_b64 v20, v[106:107] offset:2176                   // 000000009EC8: D89A0880 00006A14
	ds_write_b64 v20, v[110:111] offset:4352                   // 000000009ED0: D89A1100 00006E14
	ds_write_b64 v20, v[114:115] offset:6528                   // 000000009ED8: D89A1980 00007214
	ds_write_b64 v20, v[118:119] offset:8704                   // 000000009EE0: D89A2200 00007614
	ds_write_b64 v20, v[122:123] offset:10880                  // 000000009EE8: D89A2A80 00007A14
	ds_write_b64 v20, v[126:127] offset:13056                  // 000000009EF0: D89A3300 00007E14
	s_waitcnt lgkmcnt(0)                                       // 000000009EF8: BF8CC07F
	s_barrier                                                  // 000000009EFC: BF8A0000
	ds_read_b32 v102, v21                                      // 000000009F00: D86C0000 66000015
	ds_read_b32 v103, v21 offset:64                            // 000000009F08: D86C0040 67000015
	ds_read_b32 v106, v21 offset:2176                          // 000000009F10: D86C0880 6A000015
	ds_read_b32 v107, v21 offset:2240                          // 000000009F18: D86C08C0 6B000015
	ds_read_b32 v110, v21 offset:4352                          // 000000009F20: D86C1100 6E000015
	ds_read_b32 v111, v21 offset:4416                          // 000000009F28: D86C1140 6F000015
	ds_read_b32 v114, v21 offset:6528                          // 000000009F30: D86C1980 72000015
	ds_read_b32 v115, v21 offset:6592                          // 000000009F38: D86C19C0 73000015
	ds_read_b32 v118, v21 offset:8704                          // 000000009F40: D86C2200 76000015
	ds_read_b32 v119, v21 offset:8768                          // 000000009F48: D86C2240 77000015
	ds_read_b32 v122, v21 offset:10880                         // 000000009F50: D86C2A80 7A000015
	ds_read_b32 v123, v21 offset:10944                         // 000000009F58: D86C2AC0 7B000015
	ds_read_b32 v126, v21 offset:13056                         // 000000009F60: D86C3300 7E000015
	ds_read_b32 v127, v21 offset:13120                         // 000000009F68: D86C3340 7F000015
	s_waitcnt lgkmcnt(0)                                       // 000000009F70: BF8CC07F
	v_mov_b32_e32 v7, 0                                        // 000000009F74: 7E0E0280
	s_mov_b64 exec, s[36:37]                                   // 000000009F78: BEFE0124
	v_mov_b32_e32 v6, v56                                      // 000000009F7C: 7E0C0338
	s_mov_b64 s[60:61], 0                                      // 000000009F80: BEBC0180
	v_readlane_b32 s82, v3, 0                                  // 000000009F84: D2890052 00010103
	s_and_b32 s82, s82, 0xffffff                               // 000000009F8C: 8652FF52 00FFFFFF
	s_cmp_lt_u32 s82, s66                                      // 000000009F94: BF0A4252
	s_cselect_b32 s20, s36, s60                                // 000000009F98: 85143C24
	v_readlane_b32 s82, v3, 1                                  // 000000009F9C: D2890052 00010303
	s_and_b32 s82, s82, 0xffffff                               // 000000009FA4: 8652FF52 00FFFFFF
	s_cmp_lt_u32 s82, s66                                      // 000000009FAC: BF0A4252
	s_cselect_b32 s21, s36, s60                                // 000000009FB0: 85153C24
	s_mov_b64 exec, s[20:21]                                   // 000000009FB4: BEFE0114
	global_atomic_add_f32 v6, v102, s[8:9] offset:8            // 000000009FB8: DD348008 00086606
	s_mov_b64 exec, s[36:37]                                   // 000000009FC0: BEFE0124
	v_mov_b32_e32 v6, v57                                      // 000000009FC4: 7E0C0339
	s_mov_b64 s[60:61], 0                                      // 000000009FC8: BEBC0180
	v_readlane_b32 s82, v3, 2                                  // 000000009FCC: D2890052 00010503
	s_and_b32 s82, s82, 0xffffff                               // 000000009FD4: 8652FF52 00FFFFFF
	s_cmp_lt_u32 s82, s66                                      // 000000009FDC: BF0A4252
	s_cselect_b32 s20, s36, s60                                // 000000009FE0: 85143C24
	v_readlane_b32 s82, v3, 3                                  // 000000009FE4: D2890052 00010703
	s_and_b32 s82, s82, 0xffffff                               // 000000009FEC: 8652FF52 00FFFFFF
	s_cmp_lt_u32 s82, s66                                      // 000000009FF4: BF0A4252
	s_cselect_b32 s21, s36, s60                                // 000000009FF8: 85153C24
	s_mov_b64 exec, s[20:21]                                   // 000000009FFC: BEFE0114
	global_atomic_add_f32 v6, v103, s[8:9] offset:8            // 00000000A000: DD348008 00086706
	s_mov_b64 exec, s[36:37]                                   // 00000000A008: BEFE0124
	v_mov_b32_e32 v6, v58                                      // 00000000A00C: 7E0C033A
	s_mov_b64 s[60:61], 0                                      // 00000000A010: BEBC0180
	v_readlane_b32 s82, v3, 4                                  // 00000000A014: D2890052 00010903
	s_and_b32 s82, s82, 0xffffff                               // 00000000A01C: 8652FF52 00FFFFFF
	s_cmp_lt_u32 s82, s66                                      // 00000000A024: BF0A4252
	s_cselect_b32 s20, s36, s60                                // 00000000A028: 85143C24
	v_readlane_b32 s82, v3, 5                                  // 00000000A02C: D2890052 00010B03
	s_and_b32 s82, s82, 0xffffff                               // 00000000A034: 8652FF52 00FFFFFF
	s_cmp_lt_u32 s82, s66                                      // 00000000A03C: BF0A4252
	s_cselect_b32 s21, s36, s60                                // 00000000A040: 85153C24
	s_mov_b64 exec, s[20:21]                                   // 00000000A044: BEFE0114
	global_atomic_add_f32 v6, v106, s[8:9] offset:8            // 00000000A048: DD348008 00086A06
	s_mov_b64 exec, s[36:37]                                   // 00000000A050: BEFE0124
	v_mov_b32_e32 v6, v59                                      // 00000000A054: 7E0C033B
	s_mov_b64 s[60:61], 0                                      // 00000000A058: BEBC0180
	v_readlane_b32 s82, v3, 6                                  // 00000000A05C: D2890052 00010D03
	s_and_b32 s82, s82, 0xffffff                               // 00000000A064: 8652FF52 00FFFFFF
	s_cmp_lt_u32 s82, s66                                      // 00000000A06C: BF0A4252
	s_cselect_b32 s20, s36, s60                                // 00000000A070: 85143C24
	v_readlane_b32 s82, v3, 7                                  // 00000000A074: D2890052 00010F03
	s_and_b32 s82, s82, 0xffffff                               // 00000000A07C: 8652FF52 00FFFFFF
	s_cmp_lt_u32 s82, s66                                      // 00000000A084: BF0A4252
	s_cselect_b32 s21, s36, s60                                // 00000000A088: 85153C24
	s_mov_b64 exec, s[20:21]                                   // 00000000A08C: BEFE0114
	global_atomic_add_f32 v6, v107, s[8:9] offset:8            // 00000000A090: DD348008 00086B06
	s_mov_b64 exec, s[36:37]                                   // 00000000A098: BEFE0124
	v_mov_b32_e32 v6, v60                                      // 00000000A09C: 7E0C033C
	s_mov_b64 s[60:61], 0                                      // 00000000A0A0: BEBC0180
	v_readlane_b32 s82, v3, 8                                  // 00000000A0A4: D2890052 00011103
	s_and_b32 s82, s82, 0xffffff                               // 00000000A0AC: 8652FF52 00FFFFFF
	s_cmp_lt_u32 s82, s66                                      // 00000000A0B4: BF0A4252
	s_cselect_b32 s20, s36, s60                                // 00000000A0B8: 85143C24
	v_readlane_b32 s82, v3, 9                                  // 00000000A0BC: D2890052 00011303
	s_and_b32 s82, s82, 0xffffff                               // 00000000A0C4: 8652FF52 00FFFFFF
	s_cmp_lt_u32 s82, s66                                      // 00000000A0CC: BF0A4252
	s_cselect_b32 s21, s36, s60                                // 00000000A0D0: 85153C24
	s_mov_b64 exec, s[20:21]                                   // 00000000A0D4: BEFE0114
	global_atomic_add_f32 v6, v110, s[8:9] offset:8            // 00000000A0D8: DD348008 00086E06
	s_mov_b64 exec, s[36:37]                                   // 00000000A0E0: BEFE0124
	v_mov_b32_e32 v6, v61                                      // 00000000A0E4: 7E0C033D
	s_mov_b64 s[60:61], 0                                      // 00000000A0E8: BEBC0180
	v_readlane_b32 s82, v3, 10                                 // 00000000A0EC: D2890052 00011503
	s_and_b32 s82, s82, 0xffffff                               // 00000000A0F4: 8652FF52 00FFFFFF
	s_cmp_lt_u32 s82, s66                                      // 00000000A0FC: BF0A4252
	s_cselect_b32 s20, s36, s60                                // 00000000A100: 85143C24
	v_readlane_b32 s82, v3, 11                                 // 00000000A104: D2890052 00011703
	s_and_b32 s82, s82, 0xffffff                               // 00000000A10C: 8652FF52 00FFFFFF
	s_cmp_lt_u32 s82, s66                                      // 00000000A114: BF0A4252
	s_cselect_b32 s21, s36, s60                                // 00000000A118: 85153C24
	s_mov_b64 exec, s[20:21]                                   // 00000000A11C: BEFE0114
	global_atomic_add_f32 v6, v111, s[8:9] offset:8            // 00000000A120: DD348008 00086F06
	s_mov_b64 exec, s[36:37]                                   // 00000000A128: BEFE0124
	v_mov_b32_e32 v6, v62                                      // 00000000A12C: 7E0C033E
	s_mov_b64 s[60:61], 0                                      // 00000000A130: BEBC0180
	v_readlane_b32 s82, v3, 12                                 // 00000000A134: D2890052 00011903
	s_and_b32 s82, s82, 0xffffff                               // 00000000A13C: 8652FF52 00FFFFFF
	s_cmp_lt_u32 s82, s66                                      // 00000000A144: BF0A4252
	s_cselect_b32 s20, s36, s60                                // 00000000A148: 85143C24
	v_readlane_b32 s82, v3, 13                                 // 00000000A14C: D2890052 00011B03
	s_and_b32 s82, s82, 0xffffff                               // 00000000A154: 8652FF52 00FFFFFF
	s_cmp_lt_u32 s82, s66                                      // 00000000A15C: BF0A4252
	s_cselect_b32 s21, s36, s60                                // 00000000A160: 85153C24
	s_mov_b64 exec, s[20:21]                                   // 00000000A164: BEFE0114
	global_atomic_add_f32 v6, v114, s[8:9] offset:8            // 00000000A168: DD348008 00087206
	s_mov_b64 exec, s[36:37]                                   // 00000000A170: BEFE0124
	v_mov_b32_e32 v6, v63                                      // 00000000A174: 7E0C033F
	s_mov_b64 s[60:61], 0                                      // 00000000A178: BEBC0180
	v_readlane_b32 s82, v3, 14                                 // 00000000A17C: D2890052 00011D03
	s_and_b32 s82, s82, 0xffffff                               // 00000000A184: 8652FF52 00FFFFFF
	s_cmp_lt_u32 s82, s66                                      // 00000000A18C: BF0A4252
	s_cselect_b32 s20, s36, s60                                // 00000000A190: 85143C24
	v_readlane_b32 s82, v3, 15                                 // 00000000A194: D2890052 00011F03
	s_and_b32 s82, s82, 0xffffff                               // 00000000A19C: 8652FF52 00FFFFFF
	s_cmp_lt_u32 s82, s66                                      // 00000000A1A4: BF0A4252
	s_cselect_b32 s21, s36, s60                                // 00000000A1A8: 85153C24
	s_mov_b64 exec, s[20:21]                                   // 00000000A1AC: BEFE0114
	global_atomic_add_f32 v6, v115, s[8:9] offset:8            // 00000000A1B0: DD348008 00087306
	s_mov_b64 exec, s[36:37]                                   // 00000000A1B8: BEFE0124
	v_mov_b32_e32 v6, v64                                      // 00000000A1BC: 7E0C0340
	s_mov_b64 s[60:61], 0                                      // 00000000A1C0: BEBC0180
	v_readlane_b32 s82, v3, 16                                 // 00000000A1C4: D2890052 00012103
	s_and_b32 s82, s82, 0xffffff                               // 00000000A1CC: 8652FF52 00FFFFFF
	s_cmp_lt_u32 s82, s66                                      // 00000000A1D4: BF0A4252
	s_cselect_b32 s20, s36, s60                                // 00000000A1D8: 85143C24
	v_readlane_b32 s82, v3, 17                                 // 00000000A1DC: D2890052 00012303
	s_and_b32 s82, s82, 0xffffff                               // 00000000A1E4: 8652FF52 00FFFFFF
	s_cmp_lt_u32 s82, s66                                      // 00000000A1EC: BF0A4252
	s_cselect_b32 s21, s36, s60                                // 00000000A1F0: 85153C24
	s_mov_b64 exec, s[20:21]                                   // 00000000A1F4: BEFE0114
	global_atomic_add_f32 v6, v118, s[8:9] offset:8            // 00000000A1F8: DD348008 00087606
	s_mov_b64 exec, s[36:37]                                   // 00000000A200: BEFE0124
	v_mov_b32_e32 v6, v65                                      // 00000000A204: 7E0C0341
	s_mov_b64 s[60:61], 0                                      // 00000000A208: BEBC0180
	v_readlane_b32 s82, v3, 18                                 // 00000000A20C: D2890052 00012503
	s_and_b32 s82, s82, 0xffffff                               // 00000000A214: 8652FF52 00FFFFFF
	s_cmp_lt_u32 s82, s66                                      // 00000000A21C: BF0A4252
	s_cselect_b32 s20, s36, s60                                // 00000000A220: 85143C24
	v_readlane_b32 s82, v3, 19                                 // 00000000A224: D2890052 00012703
	s_and_b32 s82, s82, 0xffffff                               // 00000000A22C: 8652FF52 00FFFFFF
	s_cmp_lt_u32 s82, s66                                      // 00000000A234: BF0A4252
	s_cselect_b32 s21, s36, s60                                // 00000000A238: 85153C24
	s_mov_b64 exec, s[20:21]                                   // 00000000A23C: BEFE0114
	global_atomic_add_f32 v6, v119, s[8:9] offset:8            // 00000000A240: DD348008 00087706
	s_mov_b64 exec, s[36:37]                                   // 00000000A248: BEFE0124
	v_mov_b32_e32 v6, v66                                      // 00000000A24C: 7E0C0342
	s_mov_b64 s[60:61], 0                                      // 00000000A250: BEBC0180
	v_readlane_b32 s82, v3, 20                                 // 00000000A254: D2890052 00012903
	s_and_b32 s82, s82, 0xffffff                               // 00000000A25C: 8652FF52 00FFFFFF
	s_cmp_lt_u32 s82, s66                                      // 00000000A264: BF0A4252
	s_cselect_b32 s20, s36, s60                                // 00000000A268: 85143C24
	v_readlane_b32 s82, v3, 21                                 // 00000000A26C: D2890052 00012B03
	s_and_b32 s82, s82, 0xffffff                               // 00000000A274: 8652FF52 00FFFFFF
	s_cmp_lt_u32 s82, s66                                      // 00000000A27C: BF0A4252
	s_cselect_b32 s21, s36, s60                                // 00000000A280: 85153C24
	s_mov_b64 exec, s[20:21]                                   // 00000000A284: BEFE0114
	global_atomic_add_f32 v6, v122, s[8:9] offset:8            // 00000000A288: DD348008 00087A06
	s_mov_b64 exec, s[36:37]                                   // 00000000A290: BEFE0124
	v_mov_b32_e32 v6, v67                                      // 00000000A294: 7E0C0343
	s_mov_b64 s[60:61], 0                                      // 00000000A298: BEBC0180
	v_readlane_b32 s82, v3, 22                                 // 00000000A29C: D2890052 00012D03
	s_and_b32 s82, s82, 0xffffff                               // 00000000A2A4: 8652FF52 00FFFFFF
	s_cmp_lt_u32 s82, s66                                      // 00000000A2AC: BF0A4252
	s_cselect_b32 s20, s36, s60                                // 00000000A2B0: 85143C24
	v_readlane_b32 s82, v3, 23                                 // 00000000A2B4: D2890052 00012F03
	s_and_b32 s82, s82, 0xffffff                               // 00000000A2BC: 8652FF52 00FFFFFF
	s_cmp_lt_u32 s82, s66                                      // 00000000A2C4: BF0A4252
	s_cselect_b32 s21, s36, s60                                // 00000000A2C8: 85153C24
	s_mov_b64 exec, s[20:21]                                   // 00000000A2CC: BEFE0114
	global_atomic_add_f32 v6, v123, s[8:9] offset:8            // 00000000A2D0: DD348008 00087B06
	s_mov_b64 exec, s[36:37]                                   // 00000000A2D8: BEFE0124
	v_mov_b32_e32 v6, v68                                      // 00000000A2DC: 7E0C0344
	s_mov_b64 s[60:61], 0                                      // 00000000A2E0: BEBC0180
	v_readlane_b32 s82, v3, 24                                 // 00000000A2E4: D2890052 00013103
	s_and_b32 s82, s82, 0xffffff                               // 00000000A2EC: 8652FF52 00FFFFFF
	s_cmp_lt_u32 s82, s66                                      // 00000000A2F4: BF0A4252
	s_cselect_b32 s20, s36, s60                                // 00000000A2F8: 85143C24
	v_readlane_b32 s82, v3, 25                                 // 00000000A2FC: D2890052 00013303
	s_and_b32 s82, s82, 0xffffff                               // 00000000A304: 8652FF52 00FFFFFF
	s_cmp_lt_u32 s82, s66                                      // 00000000A30C: BF0A4252
	s_cselect_b32 s21, s36, s60                                // 00000000A310: 85153C24
	s_mov_b64 exec, s[20:21]                                   // 00000000A314: BEFE0114
	global_atomic_add_f32 v6, v126, s[8:9] offset:8            // 00000000A318: DD348008 00087E06
	s_mov_b64 exec, s[36:37]                                   // 00000000A320: BEFE0124
	v_mov_b32_e32 v6, v69                                      // 00000000A324: 7E0C0345
	s_mov_b64 s[60:61], 0                                      // 00000000A328: BEBC0180
	v_readlane_b32 s82, v3, 26                                 // 00000000A32C: D2890052 00013503
	s_and_b32 s82, s82, 0xffffff                               // 00000000A334: 8652FF52 00FFFFFF
	s_cmp_lt_u32 s82, s66                                      // 00000000A33C: BF0A4252
	s_cselect_b32 s20, s36, s60                                // 00000000A340: 85143C24
	v_readlane_b32 s82, v3, 27                                 // 00000000A344: D2890052 00013703
	s_and_b32 s82, s82, 0xffffff                               // 00000000A34C: 8652FF52 00FFFFFF
	s_cmp_lt_u32 s82, s66                                      // 00000000A354: BF0A4252
	s_cselect_b32 s21, s36, s60                                // 00000000A358: 85153C24
	s_mov_b64 exec, s[20:21]                                   // 00000000A35C: BEFE0114
	global_atomic_add_f32 v6, v127, s[8:9] offset:8            // 00000000A360: DD348008 00087F06
	s_mov_b64 exec, s[36:37]                                   // 00000000A368: BEFE0124
	s_branch label_1E5F                                        // 00000000A36C: BF820000

000000000000a370 <label_1E5F>:
	s_waitcnt vmcnt(0) expcnt(0) lgkmcnt(0)                    // 00000000A370: BF8C0000
	s_endpgm                                                   // 00000000A374: BF810000
